;; amdgpu-corpus repo=ROCm/rocFFT kind=compiled arch=gfx906 opt=O3
	.text
	.amdgcn_target "amdgcn-amd-amdhsa--gfx906"
	.amdhsa_code_object_version 6
	.protected	bluestein_single_back_len2916_dim1_sp_op_CI_CI ; -- Begin function bluestein_single_back_len2916_dim1_sp_op_CI_CI
	.globl	bluestein_single_back_len2916_dim1_sp_op_CI_CI
	.p2align	8
	.type	bluestein_single_back_len2916_dim1_sp_op_CI_CI,@function
bluestein_single_back_len2916_dim1_sp_op_CI_CI: ; @bluestein_single_back_len2916_dim1_sp_op_CI_CI
; %bb.0:
	s_load_dwordx4 s[16:19], s[4:5], 0x28
	v_mul_u32_u24_e32 v1, 0x10e, v0
	v_add_u32_sdwa v92, s6, v1 dst_sel:DWORD dst_unused:UNUSED_PAD src0_sel:DWORD src1_sel:WORD_1
	v_mov_b32_e32 v93, 0
	s_waitcnt lgkmcnt(0)
	v_cmp_gt_u64_e32 vcc, s[16:17], v[92:93]
	s_and_saveexec_b64 s[0:1], vcc
	s_cbranch_execz .LBB0_2
; %bb.1:
	s_load_dwordx4 s[0:3], s[4:5], 0x18
	s_load_dwordx4 s[8:11], s[4:5], 0x0
	s_movk_i32 s7, 0xf3
	v_mul_lo_u16_sdwa v1, v1, s7 dst_sel:DWORD dst_unused:UNUSED_PAD src0_sel:WORD_1 src1_sel:DWORD
	v_sub_u16_e32 v112, v0, v1
	s_waitcnt lgkmcnt(0)
	s_load_dwordx4 s[12:15], s[0:1], 0x0
	v_lshlrev_b32_e32 v113, 3, v112
	s_movk_i32 s6, 0x1000
	global_load_dwordx2 v[103:104], v113, s[8:9]
	global_load_dwordx2 v[101:102], v113, s[8:9] offset:3888
	s_waitcnt lgkmcnt(0)
	v_mad_u64_u32 v[0:1], s[0:1], s14, v92, 0
	v_mad_u64_u32 v[2:3], s[0:1], s12, v112, 0
	s_movk_i32 s14, 0x2000
	v_mov_b32_e32 v111, 0xffffbba8
	v_mad_u64_u32 v[4:5], s[0:1], s15, v92, v[1:2]
	v_add_u32_e32 v117, 0x1e00, v113
	v_add_u32_e32 v118, 0xf00, v113
	v_mad_u64_u32 v[5:6], s[0:1], s13, v112, v[3:4]
	v_mov_b32_e32 v1, v4
	v_lshlrev_b64 v[0:1], 3, v[0:1]
	v_mov_b32_e32 v6, s19
	v_mov_b32_e32 v3, v5
	v_add_co_u32_e32 v4, vcc, s18, v0
	v_addc_co_u32_e32 v5, vcc, v6, v1, vcc
	v_lshlrev_b64 v[0:1], 3, v[2:3]
	s_mul_i32 s0, s13, 0xf30
	v_add_co_u32_e32 v0, vcc, v4, v0
	v_addc_co_u32_e32 v1, vcc, v5, v1, vcc
	v_mov_b32_e32 v4, s9
	v_add_co_u32_e32 v124, vcc, s8, v113
	s_mul_hi_u32 s1, s12, 0xf30
	v_addc_co_u32_e32 v125, vcc, 0, v4, vcc
	s_add_i32 s0, s1, s0
	s_mul_i32 s1, s12, 0xf30
	global_load_dwordx2 v[2:3], v[0:1], off
	v_mov_b32_e32 v4, s0
	v_add_co_u32_e32 v0, vcc, s1, v0
	v_addc_co_u32_e32 v1, vcc, v1, v4, vcc
	v_mov_b32_e32 v5, s0
	v_add_co_u32_e32 v4, vcc, s1, v0
	v_addc_co_u32_e32 v5, vcc, v1, v5, vcc
	global_load_dwordx2 v[6:7], v[0:1], off
	global_load_dwordx2 v[8:9], v[4:5], off
	v_add_co_u32_e32 v0, vcc, s6, v124
	v_addc_co_u32_e32 v1, vcc, 0, v125, vcc
	v_mov_b32_e32 v10, s0
	v_add_co_u32_e32 v4, vcc, s1, v4
	v_addc_co_u32_e32 v5, vcc, v5, v10, vcc
	v_add_co_u32_e32 v12, vcc, s14, v124
	v_addc_co_u32_e32 v13, vcc, 0, v125, vcc
	global_load_dwordx2 v[10:11], v[4:5], off
	v_mov_b32_e32 v14, s0
	v_add_co_u32_e32 v4, vcc, s1, v4
	v_addc_co_u32_e32 v5, vcc, v5, v14, vcc
	s_movk_i32 s14, 0x3000
	v_add_co_u32_e32 v16, vcc, s14, v124
	v_addc_co_u32_e32 v17, vcc, 0, v125, vcc
	global_load_dwordx2 v[14:15], v[4:5], off
	v_mov_b32_e32 v18, s0
	v_add_co_u32_e32 v4, vcc, s1, v4
	global_load_dwordx2 v[99:100], v[0:1], off offset:3680
	v_addc_co_u32_e32 v5, vcc, v5, v18, vcc
	s_movk_i32 s14, 0x4000
	global_load_dwordx2 v[18:19], v[4:5], off
	v_add_co_u32_e32 v20, vcc, s14, v124
	v_mad_u64_u32 v[4:5], s[14:15], s12, v111, v[4:5]
	global_load_dwordx2 v[97:98], v[12:13], off offset:3472
	global_load_dwordx2 v[93:94], v[16:17], off offset:3264
	s_mulk_i32 s13, 0xbba8
	s_sub_i32 s12, s13, s12
	v_addc_co_u32_e32 v21, vcc, 0, v125, vcc
	global_load_dwordx2 v[95:96], v[20:21], off offset:3056
	v_add_u32_e32 v5, s12, v5
	global_load_dwordx2 v[22:23], v[4:5], off
	global_load_dwordx2 v[90:91], v113, s[8:9] offset:1944
	v_mov_b32_e32 v24, s0
	v_add_co_u32_e32 v4, vcc, s1, v4
	v_addc_co_u32_e32 v5, vcc, v5, v24, vcc
	global_load_dwordx2 v[24:25], v[4:5], off
	global_load_dwordx2 v[88:89], v[0:1], off offset:1736
	v_mov_b32_e32 v1, s0
	v_add_co_u32_e32 v0, vcc, s1, v4
	v_addc_co_u32_e32 v1, vcc, v5, v1, vcc
	global_load_dwordx2 v[4:5], v[0:1], off
	global_load_dwordx2 v[86:87], v[12:13], off offset:1528
	;; [unrolled: 5-line block ×4, first 2 shown]
	v_mov_b32_e32 v20, s0
	v_add_co_u32_e32 v0, vcc, s1, v0
	v_addc_co_u32_e32 v1, vcc, v1, v20, vcc
	s_movk_i32 s0, 0x5000
	v_add_co_u32_e32 v109, vcc, s0, v124
	v_addc_co_u32_e32 v110, vcc, 0, v125, vcc
	global_load_dwordx2 v[0:1], v[0:1], off
	s_waitcnt vmcnt(20)
	v_mul_f32_e32 v20, v3, v104
	global_load_dwordx2 v[80:81], v[109:110], off offset:904
	v_fmac_f32_e32 v20, v2, v103
	v_mul_f32_e32 v2, v2, v104
	v_fma_f32 v21, v3, v103, -v2
	s_waitcnt vmcnt(20)
	v_mul_f32_e32 v2, v7, v102
	v_mul_f32_e32 v3, v6, v102
	v_fmac_f32_e32 v2, v6, v101
	v_fma_f32 v3, v7, v101, -v3
	ds_write_b64 v113, v[2:3] offset:3888
	s_load_dwordx4 s[0:3], s[2:3], 0x0
	v_add_u32_e32 v115, 0x3c80, v113
	v_add_u32_e32 v116, 0x2d80, v113
	;; [unrolled: 1-line block ×3, first 2 shown]
	v_add_co_u32_e32 v64, vcc, s7, v112
	s_movk_i32 s7, 0xab
	v_addc_co_u32_e64 v52, s[8:9], 0, 0, vcc
	v_mov_b32_e32 v72, s11
	s_load_dwordx2 s[4:5], s[4:5], 0x38
	s_waitcnt vmcnt(16)
	v_mul_f32_e32 v2, v9, v100
	v_mul_f32_e32 v3, v8, v100
	v_fmac_f32_e32 v2, v8, v99
	v_fma_f32 v3, v9, v99, -v3
	ds_write_b64 v113, v[2:3] offset:7776
	s_waitcnt vmcnt(14)
	v_mul_f32_e32 v2, v11, v98
	v_mul_f32_e32 v3, v10, v98
	v_fmac_f32_e32 v2, v10, v97
	v_fma_f32 v3, v11, v97, -v3
	ds_write_b64 v113, v[2:3] offset:11664
	s_waitcnt vmcnt(13)
	v_mul_f32_e32 v2, v15, v94
	v_mul_f32_e32 v3, v14, v94
	v_fmac_f32_e32 v2, v14, v93
	v_fma_f32 v3, v15, v93, -v3
	ds_write_b64 v113, v[2:3] offset:15552
	s_waitcnt vmcnt(12)
	v_mul_f32_e32 v2, v19, v96
	v_mul_f32_e32 v3, v18, v96
	v_fmac_f32_e32 v2, v18, v95
	v_fma_f32 v3, v19, v95, -v3
	ds_write_b64 v113, v[2:3] offset:19440
	s_waitcnt vmcnt(10)
	v_mul_f32_e32 v2, v23, v91
	v_mul_f32_e32 v3, v22, v91
	v_fmac_f32_e32 v2, v22, v90
	v_fma_f32 v3, v23, v90, -v3
	ds_write2_b64 v113, v[20:21], v[2:3] offset1:243
	s_waitcnt vmcnt(8)
	v_mul_f32_e32 v2, v25, v89
	v_mul_f32_e32 v3, v24, v89
	v_fmac_f32_e32 v2, v24, v88
	v_fma_f32 v3, v25, v88, -v3
	ds_write_b64 v113, v[2:3] offset:5832
	s_waitcnt vmcnt(6)
	v_mul_f32_e32 v2, v5, v87
	v_mul_f32_e32 v3, v4, v87
	v_fmac_f32_e32 v2, v4, v86
	v_fma_f32 v3, v5, v86, -v3
	ds_write_b64 v113, v[2:3] offset:9720
	;; [unrolled: 6-line block ×4, first 2 shown]
	s_waitcnt vmcnt(0)
	v_mul_f32_e32 v2, v1, v81
	v_fmac_f32_e32 v2, v0, v80
	v_mul_f32_e32 v0, v0, v81
	v_fma_f32 v3, v1, v80, -v0
	ds_write_b64 v113, v[2:3] offset:21384
	s_waitcnt lgkmcnt(0)
	s_barrier
	ds_read2_b64 v[0:3], v113 offset1:243
	ds_read2_b64 v[8:11], v117 offset0:12 offset1:255
	ds_read2_b64 v[4:7], v118 offset0:6 offset1:249
	;; [unrolled: 1-line block ×5, first 2 shown]
	s_waitcnt lgkmcnt(0)
	v_add_f32_e32 v24, v0, v8
	v_add_f32_e32 v30, v24, v12
	v_add_f32_e32 v24, v8, v12
	v_fma_f32 v0, -0.5, v24, v0
	v_sub_f32_e32 v24, v9, v13
	v_mov_b32_e32 v31, v0
	v_fmac_f32_e32 v31, 0x3f5db3d7, v24
	v_fmac_f32_e32 v0, 0xbf5db3d7, v24
	v_add_f32_e32 v24, v1, v9
	v_add_f32_e32 v9, v9, v13
	v_fma_f32 v1, -0.5, v9, v1
	v_sub_f32_e32 v8, v8, v12
	v_mov_b32_e32 v9, v1
	v_add_f32_e32 v12, v16, v20
	v_fmac_f32_e32 v9, 0xbf5db3d7, v8
	v_fmac_f32_e32 v1, 0x3f5db3d7, v8
	v_add_f32_e32 v8, v4, v16
	v_fma_f32 v4, -0.5, v12, v4
	v_add_f32_e32 v33, v24, v13
	v_sub_f32_e32 v12, v17, v21
	v_mov_b32_e32 v13, v4
	v_fmac_f32_e32 v13, 0x3f5db3d7, v12
	v_fmac_f32_e32 v4, 0xbf5db3d7, v12
	v_add_f32_e32 v12, v5, v17
	v_add_f32_e32 v17, v17, v21
	v_fma_f32 v5, -0.5, v17, v5
	v_sub_f32_e32 v16, v16, v20
	v_add_f32_e32 v8, v8, v20
	v_mov_b32_e32 v17, v5
	v_fmac_f32_e32 v5, 0x3f5db3d7, v16
	v_mul_f32_e32 v20, -0.5, v4
	v_fmac_f32_e32 v20, 0x3f5db3d7, v5
	v_mul_f32_e32 v5, -0.5, v5
	v_fmac_f32_e32 v17, 0xbf5db3d7, v16
	v_fmac_f32_e32 v5, 0xbf5db3d7, v4
	v_mul_f32_e32 v16, 0x3f5db3d7, v17
	v_add_f32_e32 v29, v1, v5
	v_sub_f32_e32 v35, v1, v5
	v_add_f32_e32 v1, v10, v14
	v_add_f32_e32 v12, v12, v21
	v_fmac_f32_e32 v16, 0.5, v13
	v_fma_f32 v1, -0.5, v1, v2
	v_add_f32_e32 v26, v31, v16
	v_add_f32_e32 v28, v0, v20
	;; [unrolled: 1-line block ×3, first 2 shown]
	v_mul_f32_e32 v13, 0xbf5db3d7, v13
	v_sub_f32_e32 v32, v31, v16
	v_sub_f32_e32 v34, v0, v20
	;; [unrolled: 1-line block ×3, first 2 shown]
	v_add_f32_e32 v0, v2, v10
	v_sub_f32_e32 v2, v11, v15
	v_mov_b32_e32 v12, v1
	v_fmac_f32_e32 v13, 0.5, v17
	v_fmac_f32_e32 v12, 0x3f5db3d7, v2
	v_fmac_f32_e32 v1, 0xbf5db3d7, v2
	v_add_f32_e32 v2, v3, v11
	v_add_f32_e32 v27, v9, v13
	v_sub_f32_e32 v33, v9, v13
	v_add_f32_e32 v13, v2, v15
	v_add_f32_e32 v2, v11, v15
	v_fmac_f32_e32 v3, -0.5, v2
	v_add_f32_e32 v4, v18, v22
	v_add_f32_e32 v0, v0, v14
	v_sub_f32_e32 v2, v10, v14
	v_mov_b32_e32 v14, v3
	v_fma_f32 v5, -0.5, v4, v6
	v_fmac_f32_e32 v14, 0xbf5db3d7, v2
	v_fmac_f32_e32 v3, 0x3f5db3d7, v2
	v_add_f32_e32 v2, v6, v18
	v_sub_f32_e32 v4, v19, v23
	v_mov_b32_e32 v6, v5
	v_fmac_f32_e32 v6, 0x3f5db3d7, v4
	v_fmac_f32_e32 v5, 0xbf5db3d7, v4
	v_add_f32_e32 v4, v7, v19
	v_add_f32_e32 v15, v4, v23
	;; [unrolled: 1-line block ×3, first 2 shown]
	v_fmac_f32_e32 v7, -0.5, v4
	v_sub_f32_e32 v4, v18, v22
	v_mov_b32_e32 v11, v7
	v_fmac_f32_e32 v11, 0xbf5db3d7, v4
	v_mul_f32_e32 v16, 0x3f5db3d7, v11
	v_add_f32_e32 v2, v2, v22
	v_fmac_f32_e32 v16, 0.5, v6
	v_add_f32_e32 v24, v30, v8
	v_sub_f32_e32 v30, v30, v8
	v_fmac_f32_e32 v7, 0x3f5db3d7, v4
	v_add_f32_e32 v8, v0, v2
	v_add_f32_e32 v10, v12, v16
	v_mul_f32_e32 v18, 0xbf5db3d7, v6
	v_sub_f32_e32 v6, v0, v2
	v_sub_f32_e32 v0, v12, v16
	v_mul_lo_u16_e32 v12, 6, v112
	v_mul_f32_e32 v17, -0.5, v5
	v_fmac_f32_e32 v18, 0.5, v11
	v_mul_f32_e32 v19, -0.5, v7
	v_lshlrev_b32_e32 v130, 3, v12
	v_mul_u32_u24_e32 v12, 6, v64
	v_fmac_f32_e32 v17, 0x3f5db3d7, v7
	v_add_f32_e32 v9, v13, v15
	v_add_f32_e32 v11, v14, v18
	v_fmac_f32_e32 v19, 0xbf5db3d7, v5
	v_lshlrev_b32_e32 v129, 3, v12
	v_add_f32_e32 v4, v1, v17
	v_add_f32_e32 v5, v3, v19
	v_sub_f32_e32 v2, v1, v17
	v_sub_f32_e32 v7, v13, v15
	;; [unrolled: 1-line block ×4, first 2 shown]
	s_barrier
	ds_write_b128 v130, v[24:27]
	ds_write_b128 v130, v[28:31] offset:16
	ds_write_b128 v130, v[32:35] offset:32
	ds_write_b128 v129, v[8:11]
	ds_write_b128 v129, v[4:7] offset:16
	ds_write_b128 v129, v[0:3] offset:32
	v_mul_lo_u16_sdwa v0, v112, s7 dst_sel:DWORD dst_unused:UNUSED_PAD src0_sel:BYTE_0 src1_sel:DWORD
	v_lshrrev_b16_e32 v24, 10, v0
	v_mul_lo_u16_e32 v0, 6, v24
	v_sub_u16_e32 v0, v112, v0
	v_and_b32_e32 v25, 0xff, v0
	v_mad_u64_u32 v[0:1], s[8:9], v25, 40, s[10:11]
	s_mov_b32 s7, 0xaaab
	s_waitcnt lgkmcnt(0)
	s_barrier
	global_load_dwordx4 v[40:43], v[0:1], off
	global_load_dwordx4 v[32:35], v[0:1], off offset:16
	global_load_dwordx2 v[105:106], v[0:1], off offset:32
	v_mul_u32_u24_sdwa v0, v64, s7 dst_sel:DWORD dst_unused:UNUSED_PAD src0_sel:WORD_0 src1_sel:DWORD
	v_lshrrev_b32_e32 v26, 18, v0
	v_mul_lo_u16_e32 v0, 6, v26
	v_sub_u16_e32 v27, v64, v0
	v_mul_lo_u16_e32 v0, 40, v27
	v_add_co_u32_e32 v0, vcc, s10, v0
	v_addc_co_u32_e32 v1, vcc, 0, v72, vcc
	global_load_dwordx4 v[44:47], v[0:1], off
	global_load_dwordx4 v[36:39], v[0:1], off offset:16
	global_load_dwordx2 v[107:108], v[0:1], off offset:32
	ds_read2_b64 v[0:3], v113 offset1:243
	ds_read2_b64 v[4:7], v118 offset0:6 offset1:249
	ds_read2_b64 v[8:11], v117 offset0:12 offset1:255
	;; [unrolled: 1-line block ×5, first 2 shown]
	v_mul_u32_u24_e32 v24, 36, v24
	v_add_lshl_u32 v128, v24, v25, 3
	s_waitcnt vmcnt(0) lgkmcnt(0)
	s_barrier
	s_movk_i32 s7, 0x1e6
	v_add_co_u32_e32 v74, vcc, s7, v112
	s_movk_i32 s7, 0x2d9
	v_add_co_u32_e32 v73, vcc, s7, v112
	s_mov_b32 s7, 0xe38f
	v_mul_f32_e32 v28, v5, v41
	v_fma_f32 v28, v4, v40, -v28
	v_mul_f32_e32 v29, v4, v41
	v_mul_f32_e32 v4, v9, v43
	v_fmac_f32_e32 v29, v5, v40
	v_fma_f32 v4, v8, v42, -v4
	v_mul_f32_e32 v5, v8, v43
	v_mul_f32_e32 v8, v13, v33
	v_fmac_f32_e32 v5, v9, v42
	;; [unrolled: 4-line block ×5, first 2 shown]
	v_fma_f32 v20, v6, v44, -v20
	v_mul_f32_e32 v21, v6, v45
	v_mul_f32_e32 v6, v11, v47
	v_fma_f32 v30, v10, v46, -v6
	v_mul_f32_e32 v6, v15, v37
	v_fma_f32 v48, v14, v36, -v6
	v_mul_f32_e32 v14, v14, v37
	v_mul_f32_e32 v6, v19, v39
	v_fmac_f32_e32 v14, v15, v36
	v_fma_f32 v15, v18, v38, -v6
	v_mul_f32_e32 v18, v18, v39
	v_mul_f32_e32 v6, v23, v108
	v_fmac_f32_e32 v18, v19, v38
	v_fma_f32 v19, v22, v107, -v6
	v_add_f32_e32 v6, v0, v4
	v_mul_f32_e32 v31, v10, v47
	v_add_f32_e32 v10, v6, v12
	v_add_f32_e32 v6, v4, v12
	v_fmac_f32_e32 v31, v11, v46
	v_mul_f32_e32 v22, v22, v108
	v_fma_f32 v11, -0.5, v6, v0
	v_fmac_f32_e32 v22, v23, v107
	v_sub_f32_e32 v0, v5, v13
	v_mov_b32_e32 v23, v11
	v_fmac_f32_e32 v23, 0x3f5db3d7, v0
	v_fmac_f32_e32 v11, 0xbf5db3d7, v0
	v_add_f32_e32 v0, v1, v5
	v_add_f32_e32 v49, v0, v13
	v_add_f32_e32 v0, v5, v13
	v_fma_f32 v13, -0.5, v0, v1
	v_sub_f32_e32 v0, v4, v12
	v_mov_b32_e32 v50, v13
	v_fmac_f32_e32 v50, 0xbf5db3d7, v0
	v_fmac_f32_e32 v13, 0x3f5db3d7, v0
	v_add_f32_e32 v0, v28, v8
	v_add_f32_e32 v12, v0, v16
	;; [unrolled: 1-line block ×3, first 2 shown]
	v_fmac_f32_e32 v28, -0.5, v0
	v_sub_f32_e32 v0, v9, v17
	v_mov_b32_e32 v5, v28
	v_fmac_f32_e32 v5, 0x3f5db3d7, v0
	v_fmac_f32_e32 v28, 0xbf5db3d7, v0
	v_add_f32_e32 v0, v29, v9
	v_add_f32_e32 v51, v0, v17
	;; [unrolled: 1-line block ×3, first 2 shown]
	v_fmac_f32_e32 v29, -0.5, v0
	v_fmac_f32_e32 v21, v7, v44
	v_sub_f32_e32 v0, v8, v16
	v_mov_b32_e32 v7, v29
	v_fmac_f32_e32 v7, 0xbf5db3d7, v0
	v_fmac_f32_e32 v29, 0x3f5db3d7, v0
	v_mul_f32_e32 v16, -0.5, v28
	v_mul_f32_e32 v9, 0x3f5db3d7, v7
	v_fmac_f32_e32 v16, 0x3f5db3d7, v29
	v_add_f32_e32 v0, v10, v12
	v_fmac_f32_e32 v9, 0.5, v5
	v_add_f32_e32 v6, v11, v16
	v_sub_f32_e32 v8, v10, v12
	v_sub_f32_e32 v12, v11, v16
	v_add_f32_e32 v16, v2, v30
	v_add_f32_e32 v4, v23, v9
	v_sub_f32_e32 v10, v23, v9
	v_add_f32_e32 v23, v16, v15
	v_add_f32_e32 v16, v30, v15
	v_mul_f32_e32 v29, -0.5, v29
	v_fma_f32 v2, -0.5, v16, v2
	v_fmac_f32_e32 v29, 0xbf5db3d7, v28
	v_sub_f32_e32 v16, v31, v18
	v_mov_b32_e32 v28, v2
	v_mul_f32_e32 v17, 0xbf5db3d7, v5
	v_fmac_f32_e32 v28, 0x3f5db3d7, v16
	v_fmac_f32_e32 v2, 0xbf5db3d7, v16
	v_add_f32_e32 v16, v3, v31
	v_fmac_f32_e32 v17, 0.5, v7
	v_add_f32_e32 v7, v13, v29
	v_sub_f32_e32 v13, v13, v29
	v_add_f32_e32 v29, v16, v18
	v_add_f32_e32 v16, v31, v18
	v_fmac_f32_e32 v3, -0.5, v16
	v_sub_f32_e32 v15, v30, v15
	v_mov_b32_e32 v30, v3
	v_fmac_f32_e32 v30, 0xbf5db3d7, v15
	v_fmac_f32_e32 v3, 0x3f5db3d7, v15
	v_add_f32_e32 v15, v20, v48
	v_add_f32_e32 v31, v15, v19
	;; [unrolled: 1-line block ×5, first 2 shown]
	v_fmac_f32_e32 v20, -0.5, v15
	v_sub_f32_e32 v9, v49, v51
	v_sub_f32_e32 v11, v50, v17
	;; [unrolled: 1-line block ×3, first 2 shown]
	v_mov_b32_e32 v17, v20
	ds_write2_b64 v128, v[0:1], v[4:5] offset1:6
	ds_write2_b64 v128, v[6:7], v[8:9] offset0:12 offset1:18
	ds_write2_b64 v128, v[10:11], v[12:13] offset0:24 offset1:30
	v_mad_legacy_u16 v0, v26, 36, v27
	v_fmac_f32_e32 v17, 0x3f5db3d7, v15
	v_fmac_f32_e32 v20, 0xbf5db3d7, v15
	v_add_f32_e32 v15, v21, v14
	v_add_f32_e32 v14, v14, v22
	v_lshlrev_b32_e32 v123, 3, v0
	v_mov_b32_e32 v0, 57
	v_fmac_f32_e32 v21, -0.5, v14
	v_mul_lo_u16_sdwa v0, v112, v0 dst_sel:DWORD dst_unused:UNUSED_PAD src0_sel:BYTE_0 src1_sel:DWORD
	v_sub_f32_e32 v14, v48, v19
	v_mov_b32_e32 v19, v21
	v_lshrrev_b16_e32 v57, 11, v0
	v_fmac_f32_e32 v19, 0xbf5db3d7, v14
	v_fmac_f32_e32 v21, 0x3f5db3d7, v14
	v_mul_lo_u16_e32 v0, 36, v57
	v_add_f32_e32 v49, v15, v22
	v_mul_f32_e32 v22, 0x3f5db3d7, v19
	v_mul_f32_e32 v48, -0.5, v20
	v_mul_f32_e32 v50, 0xbf5db3d7, v17
	v_mul_f32_e32 v51, -0.5, v21
	v_sub_u16_e32 v0, v112, v0
	v_fmac_f32_e32 v22, 0.5, v17
	v_fmac_f32_e32 v48, 0x3f5db3d7, v21
	v_fmac_f32_e32 v50, 0.5, v19
	v_fmac_f32_e32 v51, 0xbf5db3d7, v20
	v_and_b32_e32 v58, 0xff, v0
	v_add_f32_e32 v14, v23, v31
	v_add_f32_e32 v16, v28, v22
	;; [unrolled: 1-line block ×6, first 2 shown]
	v_lshlrev_b32_e32 v0, 4, v58
	v_sub_f32_e32 v20, v23, v31
	v_sub_f32_e32 v22, v28, v22
	;; [unrolled: 1-line block ×6, first 2 shown]
	ds_write2_b64 v123, v[14:15], v[16:17] offset1:6
	ds_write2_b64 v123, v[18:19], v[20:21] offset0:12 offset1:18
	ds_write2_b64 v123, v[22:23], v[2:3] offset0:24 offset1:30
	s_waitcnt lgkmcnt(0)
	s_barrier
	global_load_dwordx4 v[16:19], v0, s[10:11] offset:240
	v_mul_u32_u24_sdwa v0, v64, s7 dst_sel:DWORD dst_unused:UNUSED_PAD src0_sel:WORD_0 src1_sel:DWORD
	v_lshrrev_b32_e32 v59, 21, v0
	v_mul_lo_u16_e32 v0, 36, v59
	v_sub_u16_e32 v60, v64, v0
	v_lshlrev_b16_e32 v0, 4, v60
	v_add_co_u32_e32 v0, vcc, s10, v0
	v_addc_co_u32_e32 v1, vcc, 0, v72, vcc
	global_load_dwordx4 v[20:23], v[0:1], off offset:240
	v_mul_u32_u24_sdwa v0, v74, s7 dst_sel:DWORD dst_unused:UNUSED_PAD src0_sel:WORD_0 src1_sel:DWORD
	v_lshrrev_b32_e32 v61, 21, v0
	v_mul_lo_u16_e32 v0, 36, v61
	v_sub_u16_e32 v62, v74, v0
	v_lshlrev_b16_e32 v0, 4, v62
	v_add_co_u32_e32 v0, vcc, s10, v0
	v_addc_co_u32_e32 v1, vcc, 0, v72, vcc
	global_load_dwordx4 v[24:27], v[0:1], off offset:240
	;; [unrolled: 8-line block ×3, first 2 shown]
	ds_read2_b64 v[0:3], v113 offset1:243
	ds_read2_b64 v[4:7], v117 offset0:12 offset1:255
	ds_read2_b64 v[8:11], v115 offset0:8 offset1:251
	;; [unrolled: 1-line block ×5, first 2 shown]
	v_mul_u32_u24_e32 v57, 0x6c, v57
	s_movk_i32 s7, 0x6c
	v_add_lshl_u32 v122, v57, v58, 3
	s_waitcnt vmcnt(0) lgkmcnt(0)
	s_barrier
	v_mul_f32_e32 v66, v5, v17
	v_fma_f32 v66, v4, v16, -v66
	v_mul_f32_e32 v67, v4, v17
	v_mul_f32_e32 v4, v9, v19
	v_fma_f32 v68, v8, v18, -v4
	v_fmac_f32_e32 v67, v5, v16
	v_mul_f32_e32 v8, v8, v19
	v_add_f32_e32 v5, v66, v68
	v_fmac_f32_e32 v8, v9, v18
	v_mul_f32_e32 v4, v7, v21
	v_fma_f32 v69, v6, v20, -v4
	v_mul_f32_e32 v4, v11, v23
	v_fma_f32 v71, v10, v22, -v4
	v_mul_f32_e32 v70, v6, v21
	v_fmac_f32_e32 v70, v7, v20
	v_add_f32_e32 v7, v67, v8
	v_mul_f32_e32 v75, v10, v23
	v_add_f32_e32 v9, v69, v71
	v_fmac_f32_e32 v75, v11, v22
	v_mul_f32_e32 v4, v49, v25
	v_fma_f32 v76, v48, v24, -v4
	v_mul_f32_e32 v4, v54, v27
	v_fma_f32 v78, v53, v26, -v4
	v_add_f32_e32 v11, v70, v75
	v_mul_f32_e32 v77, v48, v25
	v_fmac_f32_e32 v77, v49, v24
	v_mul_f32_e32 v53, v53, v27
	v_sub_f32_e32 v48, v69, v71
	v_add_f32_e32 v49, v76, v78
	v_mul_f32_e32 v4, v51, v29
	v_fma_f32 v79, v50, v28, -v4
	v_mul_f32_e32 v4, v56, v31
	v_fma_f32 v120, v55, v30, -v4
	v_add_f32_e32 v4, v0, v66
	v_fma_f32 v0, -0.5, v5, v0
	v_sub_f32_e32 v5, v67, v8
	v_mov_b32_e32 v6, v0
	v_fmac_f32_e32 v6, 0x3f5db3d7, v5
	v_fmac_f32_e32 v0, 0xbf5db3d7, v5
	v_add_f32_e32 v5, v1, v67
	v_fma_f32 v1, -0.5, v7, v1
	v_add_f32_e32 v5, v5, v8
	v_sub_f32_e32 v8, v66, v68
	v_mov_b32_e32 v7, v1
	v_fmac_f32_e32 v7, 0xbf5db3d7, v8
	v_fmac_f32_e32 v1, 0x3f5db3d7, v8
	v_add_f32_e32 v8, v2, v69
	v_fma_f32 v2, -0.5, v9, v2
	v_sub_f32_e32 v9, v70, v75
	v_mov_b32_e32 v10, v2
	v_fmac_f32_e32 v10, 0x3f5db3d7, v9
	v_fmac_f32_e32 v2, 0xbf5db3d7, v9
	v_add_f32_e32 v9, v3, v70
	v_fmac_f32_e32 v3, -0.5, v11
	v_mov_b32_e32 v11, v3
	v_fmac_f32_e32 v53, v54, v26
	v_mul_f32_e32 v119, v50, v29
	v_fmac_f32_e32 v11, 0xbf5db3d7, v48
	v_fmac_f32_e32 v3, 0x3f5db3d7, v48
	v_add_f32_e32 v48, v12, v76
	v_fma_f32 v12, -0.5, v49, v12
	v_fmac_f32_e32 v119, v51, v28
	v_sub_f32_e32 v49, v77, v53
	v_mov_b32_e32 v50, v12
	v_add_f32_e32 v51, v77, v53
	v_fmac_f32_e32 v50, 0x3f5db3d7, v49
	v_fmac_f32_e32 v12, 0xbf5db3d7, v49
	v_add_f32_e32 v49, v13, v77
	v_fma_f32 v13, -0.5, v51, v13
	v_mul_f32_e32 v121, v55, v31
	v_add_f32_e32 v49, v49, v53
	v_sub_f32_e32 v53, v76, v78
	v_mov_b32_e32 v51, v13
	v_add_f32_e32 v54, v79, v120
	v_fmac_f32_e32 v121, v56, v30
	v_add_f32_e32 v4, v4, v68
	v_fmac_f32_e32 v51, 0xbf5db3d7, v53
	v_fmac_f32_e32 v13, 0x3f5db3d7, v53
	v_add_f32_e32 v53, v14, v79
	v_fma_f32 v14, -0.5, v54, v14
	v_sub_f32_e32 v54, v119, v121
	v_mov_b32_e32 v55, v14
	ds_write2_b64 v122, v[4:5], v[6:7] offset1:36
	ds_write_b64 v122, v[0:1] offset:576
	v_mad_legacy_u16 v0, v59, s7, v60
	v_fmac_f32_e32 v55, 0x3f5db3d7, v54
	v_fmac_f32_e32 v14, 0xbf5db3d7, v54
	v_add_f32_e32 v54, v15, v119
	v_add_f32_e32 v56, v119, v121
	v_lshlrev_b32_e32 v119, 3, v0
	v_mad_legacy_u16 v0, v61, s7, v62
	v_add_f32_e32 v53, v53, v120
	v_sub_f32_e32 v66, v79, v120
	v_lshlrev_b32_e32 v120, 3, v0
	v_mad_legacy_u16 v0, v63, s7, v65
	v_add_f32_e32 v54, v54, v121
	v_lshlrev_b32_e32 v121, 3, v0
	v_mov_b32_e32 v0, 19
	v_mul_lo_u16_sdwa v0, v112, v0 dst_sel:DWORD dst_unused:UNUSED_PAD src0_sel:BYTE_0 src1_sel:DWORD
	v_lshrrev_b16_e32 v59, 11, v0
	v_mul_lo_u16_e32 v0, 0x6c, v59
	v_sub_u16_e32 v0, v112, v0
	v_and_b32_e32 v60, 0xff, v0
	v_lshrrev_b16_e32 v0, 2, v64
	v_mul_u32_u24_e32 v0, 0x4bdb, v0
	v_lshrrev_b32_e32 v61, 19, v0
	v_mul_lo_u16_e32 v0, 0x6c, v61
	v_fmac_f32_e32 v15, -0.5, v56
	v_sub_u16_e32 v62, v64, v0
	v_add_f32_e32 v8, v8, v71
	v_add_f32_e32 v9, v9, v75
	v_mov_b32_e32 v56, v15
	v_lshlrev_b16_e32 v0, 4, v62
	v_add_f32_e32 v48, v48, v78
	v_fmac_f32_e32 v56, 0xbf5db3d7, v66
	ds_write2_b64 v119, v[8:9], v[10:11] offset1:36
	ds_write_b64 v119, v[2:3] offset:576
	v_lshlrev_b32_e32 v10, 4, v60
	v_add_co_u32_e32 v8, vcc, s10, v0
	v_fmac_f32_e32 v15, 0x3f5db3d7, v66
	ds_write2_b64 v120, v[48:49], v[50:51] offset1:36
	ds_write_b64 v120, v[12:13] offset:576
	ds_write2_b64 v121, v[53:54], v[55:56] offset1:36
	ds_write_b64 v121, v[14:15] offset:576
	s_waitcnt lgkmcnt(0)
	s_barrier
	v_addc_co_u32_e32 v9, vcc, 0, v72, vcc
	global_load_dwordx4 v[4:7], v10, s[10:11] offset:816
	global_load_dwordx4 v[0:3], v[8:9], off offset:816
	v_lshrrev_b16_e32 v8, 2, v74
	v_mul_u32_u24_e32 v8, 0x4bdb, v8
	v_lshrrev_b32_e32 v63, 19, v8
	v_mul_lo_u16_e32 v8, 0x6c, v63
	v_sub_u16_e32 v65, v74, v8
	v_lshlrev_b16_e32 v8, 4, v65
	v_add_co_u32_e32 v8, vcc, s10, v8
	v_addc_co_u32_e32 v9, vcc, 0, v72, vcc
	global_load_dwordx4 v[12:15], v[8:9], off offset:816
	v_lshrrev_b16_e32 v8, 2, v73
	v_mul_u32_u24_e32 v8, 0x4bdb, v8
	v_lshrrev_b32_e32 v66, 19, v8
	v_mul_lo_u16_e32 v8, 0x6c, v66
	v_sub_u16_e32 v67, v73, v8
	v_lshlrev_b16_e32 v8, 4, v67
	v_add_co_u32_e32 v8, vcc, s10, v8
	v_addc_co_u32_e32 v9, vcc, 0, v72, vcc
	global_load_dwordx4 v[8:11], v[8:9], off offset:816
	ds_read2_b64 v[48:51], v117 offset0:12 offset1:255
	ds_read2_b64 v[53:56], v115 offset0:8 offset1:251
	s_movk_i32 s7, 0x144
	v_mad_legacy_u16 v61, v61, s7, v62
	s_waitcnt vmcnt(3) lgkmcnt(1)
	v_mul_f32_e32 v57, v49, v5
	v_fma_f32 v68, v48, v4, -v57
	v_mul_f32_e32 v69, v48, v5
	s_waitcnt lgkmcnt(0)
	v_mul_f32_e32 v48, v54, v7
	v_fma_f32 v70, v53, v6, -v48
	s_waitcnt vmcnt(2)
	v_mul_f32_e32 v48, v51, v1
	v_mul_f32_e32 v75, v50, v1
	v_fmac_f32_e32 v69, v49, v4
	v_fma_f32 v71, v50, v0, -v48
	v_fmac_f32_e32 v75, v51, v0
	ds_read2_b64 v[48:51], v116 offset0:2 offset1:245
	v_mul_f32_e32 v76, v53, v7
	v_mul_f32_e32 v53, v56, v3
	v_fma_f32 v77, v55, v2, -v53
	v_mul_f32_e32 v78, v55, v3
	s_waitcnt vmcnt(1) lgkmcnt(0)
	v_mul_f32_e32 v53, v49, v13
	v_fmac_f32_e32 v76, v54, v6
	v_fmac_f32_e32 v78, v56, v2
	v_fma_f32 v79, v48, v12, -v53
	ds_read2_b64 v[53:56], v114 offset0:6 offset1:249
	v_mul_f32_e32 v131, v48, v13
	v_fmac_f32_e32 v131, v49, v12
	v_sub_f32_e32 v127, v69, v76
	s_waitcnt vmcnt(0)
	v_mul_f32_e32 v48, v51, v9
	v_fma_f32 v132, v50, v8, -v48
	v_mul_f32_e32 v133, v50, v9
	s_waitcnt lgkmcnt(0)
	v_mul_f32_e32 v48, v54, v15
	v_fmac_f32_e32 v133, v51, v8
	v_fma_f32 v134, v53, v14, -v48
	ds_read2_b64 v[48:51], v113 offset1:243
	v_mul_f32_e32 v135, v53, v15
	v_mul_f32_e32 v53, v56, v11
	v_fma_f32 v136, v55, v10, -v53
	v_fmac_f32_e32 v135, v54, v14
	s_waitcnt lgkmcnt(0)
	v_add_f32_e32 v53, v48, v68
	v_add_f32_e32 v57, v53, v70
	;; [unrolled: 1-line block ×6, first 2 shown]
	v_fma_f32 v48, -0.5, v54, v48
	v_fma_f32 v49, -0.5, v53, v49
	v_mul_u32_u24_e32 v53, 0x144, v59
	v_sub_f32_e32 v68, v68, v70
	v_add_lshl_u32 v126, v53, v60, 3
	v_mov_b32_e32 v59, v48
	v_mov_b32_e32 v60, v49
	v_mul_f32_e32 v137, v55, v11
	v_fmac_f32_e32 v59, 0x3f5db3d7, v127
	v_fmac_f32_e32 v60, 0xbf5db3d7, v68
	;; [unrolled: 1-line block ×5, first 2 shown]
	ds_read2_b64 v[53:56], v118 offset0:6 offset1:249
	s_waitcnt lgkmcnt(0)
	s_barrier
	ds_write2_b64 v126, v[57:58], v[59:60] offset1:108
	ds_write_b64 v126, v[48:49] offset:1728
	v_add_f32_e32 v49, v71, v77
	v_add_f32_e32 v57, v75, v78
	;; [unrolled: 1-line block ×3, first 2 shown]
	v_fma_f32 v50, -0.5, v49, v50
	v_add_f32_e32 v49, v51, v75
	v_fmac_f32_e32 v51, -0.5, v57
	v_sub_f32_e32 v59, v75, v78
	v_sub_f32_e32 v60, v71, v77
	v_mov_b32_e32 v57, v50
	v_mov_b32_e32 v58, v51
	v_add_f32_e32 v48, v48, v77
	v_add_f32_e32 v49, v49, v78
	v_fmac_f32_e32 v57, 0x3f5db3d7, v59
	v_fmac_f32_e32 v58, 0xbf5db3d7, v60
	v_lshlrev_b32_e32 v127, 3, v61
	ds_write2_b64 v127, v[48:49], v[57:58] offset1:108
	v_add_f32_e32 v48, v79, v134
	v_fmac_f32_e32 v50, 0xbf5db3d7, v59
	v_fmac_f32_e32 v51, 0x3f5db3d7, v60
	v_fma_f32 v48, -0.5, v48, v53
	ds_write_b64 v127, v[50:51] offset:1728
	v_sub_f32_e32 v49, v131, v135
	v_mov_b32_e32 v50, v48
	v_fmac_f32_e32 v50, 0x3f5db3d7, v49
	v_fmac_f32_e32 v48, 0xbf5db3d7, v49
	v_add_f32_e32 v49, v53, v79
	v_add_f32_e32 v57, v49, v134
	;; [unrolled: 1-line block ×5, first 2 shown]
	v_fma_f32 v49, -0.5, v49, v54
	v_sub_f32_e32 v53, v79, v134
	v_mov_b32_e32 v51, v49
	v_fmac_f32_e32 v51, 0xbf5db3d7, v53
	v_fmac_f32_e32 v49, 0x3f5db3d7, v53
	v_add_f32_e32 v53, v132, v136
	v_add_f32_e32 v54, v55, v132
	v_fma_f32 v55, -0.5, v53, v55
	v_sub_f32_e32 v59, v133, v137
	v_mov_b32_e32 v53, v55
	v_fmac_f32_e32 v53, 0x3f5db3d7, v59
	v_fmac_f32_e32 v55, 0xbf5db3d7, v59
	v_add_f32_e32 v59, v54, v136
	v_add_f32_e32 v54, v56, v133
	;; [unrolled: 1-line block ×4, first 2 shown]
	v_fmac_f32_e32 v56, -0.5, v54
	v_sub_f32_e32 v61, v132, v136
	v_mov_b32_e32 v54, v56
	v_fmac_f32_e32 v54, 0xbf5db3d7, v61
	v_fmac_f32_e32 v56, 0x3f5db3d7, v61
	v_mad_legacy_u16 v61, v63, s7, v65
	v_lshlrev_b32_e32 v131, 3, v61
	ds_write2_b64 v131, v[57:58], v[50:51] offset1:108
	ds_write_b64 v131, v[48:49] offset:1728
	v_mad_legacy_u16 v48, v66, s7, v67
	v_lshlrev_b32_e32 v132, 3, v48
	s_movk_i32 s7, 0xffaf
	ds_write2_b64 v132, v[59:60], v[53:54] offset1:108
	ds_write_b64 v132, v[55:56] offset:1728
	v_add_co_u32_e32 v53, vcc, s7, v112
	s_movk_i32 s7, 0x51
	v_addc_co_u32_e64 v54, s[8:9], 0, -1, vcc
	v_cmp_gt_u16_e32 vcc, s7, v112
	v_cndmask_b32_e32 v70, v54, v52, vcc
	v_cndmask_b32_e32 v69, v53, v64, vcc
	v_lshlrev_b64 v[52:53], 4, v[69:70]
	v_lshlrev_b32_e32 v79, 4, v112
	v_add_co_u32_e32 v52, vcc, s10, v52
	s_movk_i32 s7, 0x6523
	s_waitcnt lgkmcnt(0)
	s_barrier
	global_load_dwordx4 v[48:51], v79, s[10:11] offset:2544
	v_addc_co_u32_e32 v53, vcc, v72, v53, vcc
	v_mul_u32_u24_sdwa v56, v74, s7 dst_sel:DWORD dst_unused:UNUSED_PAD src0_sel:WORD_0 src1_sel:DWORD
	global_load_dwordx4 v[52:55], v[52:53], off offset:2544
	v_lshrrev_b32_e32 v134, 23, v56
	v_mul_lo_u16_e32 v56, 0x144, v134
	v_mul_u32_u24_sdwa v58, v73, s7 dst_sel:DWORD dst_unused:UNUSED_PAD src0_sel:WORD_0 src1_sel:DWORD
	v_sub_u16_e32 v135, v74, v56
	v_lshrrev_b32_e32 v58, 23, v58
	v_lshlrev_b16_e32 v56, 4, v135
	v_mul_lo_u16_e32 v58, 0x144, v58
	v_add_co_u32_e32 v56, vcc, s10, v56
	v_sub_u16_e32 v136, v73, v58
	v_addc_co_u32_e32 v57, vcc, 0, v72, vcc
	global_load_dwordx4 v[60:63], v[56:57], off offset:2544
	v_lshlrev_b16_e32 v58, 4, v136
	v_add_co_u32_e32 v56, vcc, s10, v58
	v_addc_co_u32_e32 v57, vcc, 0, v72, vcc
	global_load_dwordx4 v[56:59], v[56:57], off offset:2544
	ds_read2_b64 v[65:68], v117 offset0:12 offset1:255
	ds_read2_b64 v[75:78], v115 offset0:8 offset1:251
	s_movk_i32 s7, 0x50
	v_cmp_lt_u16_e32 vcc, s7, v112
	s_movk_i32 s7, 0x3cc
	v_lshlrev_b32_e32 v64, 4, v64
	v_lshlrev_b32_e32 v74, 4, v74
	;; [unrolled: 1-line block ×3, first 2 shown]
	s_waitcnt vmcnt(3) lgkmcnt(1)
	v_mul_f32_e32 v70, v66, v49
	v_fma_f32 v133, v65, v48, -v70
	v_mul_f32_e32 v137, v65, v49
	v_fmac_f32_e32 v137, v66, v48
	s_waitcnt vmcnt(2)
	v_mul_f32_e32 v65, v68, v53
	v_fma_f32 v138, v67, v52, -v65
	v_mul_f32_e32 v139, v67, v53
	s_waitcnt lgkmcnt(0)
	v_mul_f32_e32 v65, v76, v51
	v_fmac_f32_e32 v139, v68, v52
	v_fma_f32 v140, v75, v50, -v65
	ds_read2_b64 v[65:68], v116 offset0:2 offset1:245
	v_mul_f32_e32 v141, v75, v51
	v_mul_f32_e32 v70, v78, v55
	;; [unrolled: 1-line block ×3, first 2 shown]
	v_fmac_f32_e32 v141, v76, v50
	v_fma_f32 v142, v77, v54, -v70
	v_fmac_f32_e32 v143, v78, v54
	ds_read2_b64 v[75:78], v114 offset0:6 offset1:249
	s_waitcnt vmcnt(1) lgkmcnt(1)
	v_mul_f32_e32 v70, v66, v61
	v_fma_f32 v144, v65, v60, -v70
	v_mul_f32_e32 v145, v65, v61
	v_fmac_f32_e32 v145, v66, v60
	s_waitcnt lgkmcnt(0)
	v_mul_f32_e32 v149, v75, v63
	s_waitcnt vmcnt(0)
	v_mul_f32_e32 v65, v68, v57
	v_fma_f32 v146, v67, v56, -v65
	v_mul_f32_e32 v147, v67, v57
	v_mul_f32_e32 v65, v76, v63
	v_fmac_f32_e32 v147, v68, v56
	v_fma_f32 v148, v75, v62, -v65
	ds_read2_b64 v[65:68], v113 offset1:243
	v_mul_f32_e32 v70, v78, v59
	v_fma_f32 v150, v77, v58, -v70
	v_mul_f32_e32 v151, v77, v59
	v_fmac_f32_e32 v149, v76, v62
	s_waitcnt lgkmcnt(0)
	v_add_f32_e32 v70, v65, v133
	v_add_f32_e32 v71, v66, v137
	;; [unrolled: 1-line block ×4, first 2 shown]
	v_fmac_f32_e32 v151, v78, v58
	ds_read2_b64 v[75:78], v118 offset0:6 offset1:249
	s_waitcnt lgkmcnt(0)
	s_barrier
	ds_write_b64 v113, v[70:71]
	v_add_f32_e32 v70, v137, v141
	v_add_f32_e32 v71, v133, v140
	v_sub_f32_e32 v152, v137, v141
	v_fma_f32 v65, -0.5, v71, v65
	v_fma_f32 v66, -0.5, v70, v66
	v_sub_f32_e32 v133, v133, v140
	v_mov_b32_e32 v70, v65
	v_mov_b32_e32 v71, v66
	v_fmac_f32_e32 v65, 0xbf5db3d7, v152
	v_fmac_f32_e32 v66, 0x3f5db3d7, v133
	ds_write_b64 v113, v[65:66] offset:5184
	v_mov_b32_e32 v65, 0x3cc
	v_cndmask_b32_e32 v65, 0, v65, vcc
	v_fmac_f32_e32 v71, 0xbf5db3d7, v133
	v_add_lshl_u32 v133, v69, v65, 3
	v_add_f32_e32 v65, v138, v142
	v_fmac_f32_e32 v70, 0x3f5db3d7, v152
	v_add_f32_e32 v69, v67, v138
	v_fma_f32 v67, -0.5, v65, v67
	v_add_f32_e32 v65, v139, v143
	ds_write_b64 v113, v[70:71] offset:2592
	v_add_f32_e32 v70, v68, v139
	v_fmac_f32_e32 v68, -0.5, v65
	v_sub_f32_e32 v71, v139, v143
	v_sub_f32_e32 v137, v138, v142
	v_mov_b32_e32 v65, v67
	v_fmac_f32_e32 v67, 0xbf5db3d7, v71
	v_mov_b32_e32 v66, v68
	v_fmac_f32_e32 v68, 0x3f5db3d7, v137
	ds_write_b64 v133, v[67:68] offset:5184
	v_add_f32_e32 v67, v69, v142
	v_add_f32_e32 v68, v70, v143
	v_fmac_f32_e32 v65, 0x3f5db3d7, v71
	v_fmac_f32_e32 v66, 0xbf5db3d7, v137
	ds_write_b64 v133, v[67:68]
	ds_write_b64 v133, v[65:66] offset:2592
	v_add_f32_e32 v65, v75, v144
	v_add_f32_e32 v66, v76, v145
	v_mad_legacy_u16 v67, v134, s7, v135
	v_add_f32_e32 v65, v65, v148
	v_add_f32_e32 v66, v66, v149
	v_lshlrev_b32_e32 v134, 3, v67
	ds_write_b64 v134, v[65:66]
	v_add_f32_e32 v66, v145, v149
	v_add_f32_e32 v65, v144, v148
	v_sub_f32_e32 v69, v145, v149
	v_fma_f32 v65, -0.5, v65, v75
	v_fma_f32 v66, -0.5, v66, v76
	v_sub_f32_e32 v70, v144, v148
	v_mov_b32_e32 v67, v65
	v_mov_b32_e32 v68, v66
	v_fmac_f32_e32 v65, 0xbf5db3d7, v69
	v_fmac_f32_e32 v66, 0x3f5db3d7, v70
	;; [unrolled: 1-line block ×4, first 2 shown]
	ds_write_b64 v134, v[65:66] offset:5184
	v_add_f32_e32 v65, v146, v150
	ds_write_b64 v134, v[67:68] offset:2592
	v_add_f32_e32 v67, v77, v146
	v_fma_f32 v77, -0.5, v65, v77
	v_add_f32_e32 v65, v147, v151
	v_add_f32_e32 v68, v78, v147
	v_fmac_f32_e32 v78, -0.5, v65
	v_sub_f32_e32 v69, v147, v151
	v_mov_b32_e32 v65, v77
	v_sub_f32_e32 v70, v146, v150
	v_mov_b32_e32 v66, v78
	v_lshlrev_b32_e32 v135, 3, v136
	v_fmac_f32_e32 v65, 0x3f5db3d7, v69
	v_fmac_f32_e32 v66, 0xbf5db3d7, v70
	ds_write_b64 v135, v[65:66] offset:18144
	v_add_co_u32_e32 v65, vcc, s10, v79
	v_addc_co_u32_e32 v66, vcc, 0, v72, vcc
	v_add_co_u32_e32 v65, vcc, s6, v65
	v_fmac_f32_e32 v77, 0xbf5db3d7, v69
	v_fmac_f32_e32 v78, 0x3f5db3d7, v70
	v_add_f32_e32 v67, v67, v150
	v_add_f32_e32 v68, v68, v151
	v_addc_co_u32_e32 v66, vcc, 0, v66, vcc
	ds_write_b64 v135, v[77:78] offset:20736
	ds_write_b64 v135, v[67:68] offset:15552
	s_waitcnt lgkmcnt(0)
	s_barrier
	global_load_dwordx4 v[68:71], v[65:66], off offset:3632
	v_add_co_u32_e32 v64, vcc, s10, v64
	v_addc_co_u32_e32 v67, vcc, 0, v72, vcc
	v_add_co_u32_e32 v64, vcc, s6, v64
	v_addc_co_u32_e32 v65, vcc, 0, v67, vcc
	global_load_dwordx4 v[64:67], v[64:65], off offset:3632
	v_add_co_u32_e32 v74, vcc, s10, v74
	v_addc_co_u32_e32 v75, vcc, 0, v72, vcc
	v_add_co_u32_e32 v74, vcc, s6, v74
	v_addc_co_u32_e32 v75, vcc, 0, v75, vcc
	;; [unrolled: 5-line block ×3, first 2 shown]
	global_load_dwordx4 v[72:75], v[72:73], off offset:3632
	ds_read2_b64 v[136:139], v117 offset0:12 offset1:255
	s_movk_i32 s6, 0x5b20
	s_waitcnt vmcnt(3) lgkmcnt(0)
	v_mul_f32_e32 v140, v137, v69
	v_fma_f32 v144, v136, v68, -v140
	ds_read2_b64 v[140:143], v115 offset0:8 offset1:251
	v_mul_f32_e32 v145, v136, v69
	v_fmac_f32_e32 v145, v137, v68
	s_waitcnt vmcnt(2)
	v_mul_f32_e32 v136, v139, v65
	v_fma_f32 v154, v138, v64, -v136
	v_mul_f32_e32 v155, v138, v65
	s_waitcnt lgkmcnt(0)
	v_mul_f32_e32 v136, v141, v71
	v_fmac_f32_e32 v155, v139, v64
	v_fma_f32 v146, v140, v70, -v136
	ds_read2_b64 v[136:139], v113 offset1:243
	v_mul_f32_e32 v140, v140, v71
	v_fmac_f32_e32 v140, v141, v70
	v_mul_f32_e32 v141, v143, v67
	v_fma_f32 v156, v142, v66, -v141
	s_waitcnt lgkmcnt(0)
	v_add_f32_e32 v141, v136, v144
	v_add_f32_e32 v152, v141, v146
	v_add_f32_e32 v141, v137, v145
	v_mul_f32_e32 v157, v142, v67
	v_add_f32_e32 v153, v141, v140
	v_sub_f32_e32 v142, v145, v140
	v_add_f32_e32 v140, v145, v140
	v_add_f32_e32 v141, v144, v146
	v_fma_f32 v136, -0.5, v141, v136
	v_fma_f32 v137, -0.5, v140, v137
	v_fmac_f32_e32 v157, v143, v66
	v_sub_f32_e32 v143, v144, v146
	v_mov_b32_e32 v140, v136
	v_mov_b32_e32 v141, v137
	v_fmac_f32_e32 v140, 0x3f5db3d7, v142
	v_fmac_f32_e32 v141, 0xbf5db3d7, v143
	;; [unrolled: 1-line block ×4, first 2 shown]
	ds_write_b64 v113, v[140:141] offset:7776
	ds_write_b64 v113, v[136:137] offset:15552
	v_add_f32_e32 v136, v138, v154
	v_add_f32_e32 v137, v139, v155
	ds_read2_b64 v[140:143], v118 offset0:6 offset1:249
	ds_read2_b64 v[144:147], v116 offset0:2 offset1:245
	;; [unrolled: 1-line block ×3, first 2 shown]
	v_add_f32_e32 v136, v136, v156
	v_add_f32_e32 v137, v137, v157
	ds_write2_b64 v113, v[152:153], v[136:137] offset1:243
	v_add_f32_e32 v136, v154, v156
	v_fma_f32 v138, -0.5, v136, v138
	v_add_f32_e32 v136, v155, v157
	v_fmac_f32_e32 v139, -0.5, v136
	s_waitcnt vmcnt(1) lgkmcnt(2)
	v_mul_f32_e32 v136, v145, v77
	v_sub_f32_e32 v137, v155, v157
	v_fma_f32 v155, v144, v76, -v136
	s_waitcnt lgkmcnt(1)
	v_mul_f32_e32 v136, v149, v79
	v_sub_f32_e32 v154, v154, v156
	v_mul_f32_e32 v156, v144, v77
	v_fma_f32 v157, v148, v78, -v136
	v_mul_f32_e32 v158, v148, v79
	v_fmac_f32_e32 v156, v145, v76
	v_fmac_f32_e32 v158, v149, v78
	v_add_f32_e32 v136, v155, v157
	v_fma_f32 v144, -0.5, v136, v140
	v_add_f32_e32 v136, v156, v158
	v_fma_f32 v145, -0.5, v136, v141
	v_sub_f32_e32 v159, v156, v158
	v_sub_f32_e32 v160, v155, v157
	v_mov_b32_e32 v148, v138
	v_fmac_f32_e32 v138, 0xbf5db3d7, v137
	v_mov_b32_e32 v149, v139
	v_fmac_f32_e32 v139, 0x3f5db3d7, v154
	;; [unrolled: 2-line block ×4, first 2 shown]
	v_add_u32_e32 v136, 0x4400, v113
	ds_write2_b64 v136, v[138:139], v[144:145] offset0:11 offset1:254
	s_waitcnt vmcnt(0)
	v_mul_f32_e32 v138, v147, v73
	v_mul_f32_e32 v145, v146, v73
	v_fma_f32 v144, v146, v72, -v138
	v_fmac_f32_e32 v145, v147, v72
	v_mul_f32_e32 v138, v151, v75
	v_mul_f32_e32 v147, v150, v75
	v_fma_f32 v146, v150, v74, -v138
	v_fmac_f32_e32 v147, v151, v74
	v_add_f32_e32 v138, v140, v155
	v_add_f32_e32 v139, v141, v156
	;; [unrolled: 1-line block ×8, first 2 shown]
	ds_write2_b64 v118, v[138:139], v[140:141] offset0:6 offset1:249
	v_add_f32_e32 v138, v144, v146
	v_fma_f32 v142, -0.5, v138, v142
	v_add_f32_e32 v138, v145, v147
	v_fmac_f32_e32 v143, -0.5, v138
	v_sub_f32_e32 v140, v145, v147
	v_sub_f32_e32 v141, v144, v146
	v_mov_b32_e32 v138, v142
	v_mov_b32_e32 v139, v143
	v_fmac_f32_e32 v148, 0x3f5db3d7, v137
	v_fmac_f32_e32 v149, 0xbf5db3d7, v154
	;; [unrolled: 1-line block ×4, first 2 shown]
	v_add_u32_e32 v137, 0x25c0, v113
	v_fmac_f32_e32 v142, 0xbf5db3d7, v140
	v_fmac_f32_e32 v143, 0x3f5db3d7, v141
	;; [unrolled: 1-line block ×4, first 2 shown]
	ds_write2_b64 v137, v[148:149], v[152:153] offset0:7 offset1:250
	ds_write_b64 v113, v[142:143] offset:21384
	ds_write_b64 v113, v[138:139] offset:13608
	s_waitcnt lgkmcnt(0)
	s_barrier
	global_load_dwordx2 v[109:110], v[109:110], off offset:2848
	v_add_co_u32_e32 v138, vcc, s6, v124
	v_addc_co_u32_e32 v139, vcc, 0, v125, vcc
	global_load_dwordx2 v[146:147], v[138:139], off offset:1944
	global_load_dwordx2 v[148:149], v[138:139], off offset:3888
	s_movk_i32 s6, 0x7000
	v_add_co_u32_e32 v138, vcc, s6, v124
	v_addc_co_u32_e32 v139, vcc, 0, v125, vcc
	global_load_dwordx2 v[150:151], v[138:139], off offset:488
	global_load_dwordx2 v[152:153], v[138:139], off offset:2432
	s_mov_b32 s6, 0x8000
	v_add_co_u32_e32 v138, vcc, s6, v124
	v_addc_co_u32_e32 v139, vcc, 0, v125, vcc
	global_load_dwordx2 v[154:155], v[138:139], off offset:280
	global_load_dwordx2 v[156:157], v[138:139], off offset:2224
	s_mov_b32 s6, 0x9000
	;; [unrolled: 5-line block ×3, first 2 shown]
	global_load_dwordx2 v[162:163], v[138:139], off offset:3960
	v_add_co_u32_e32 v124, vcc, s6, v124
	v_addc_co_u32_e32 v125, vcc, 0, v125, vcc
	global_load_dwordx2 v[164:165], v[124:125], off offset:1808
	s_nop 0
	global_load_dwordx2 v[124:125], v[124:125], off offset:3752
	ds_read2_b64 v[138:141], v113 offset1:243
	s_waitcnt vmcnt(11) lgkmcnt(0)
	v_mul_f32_e32 v142, v139, v110
	v_mul_f32_e32 v143, v138, v110
	v_fma_f32 v142, v138, v109, -v142
	v_fmac_f32_e32 v143, v139, v109
	ds_write_b64 v113, v[142:143]
	ds_read2_b64 v[142:145], v118 offset0:6 offset1:249
	s_waitcnt vmcnt(10)
	v_mul_f32_e32 v109, v141, v147
	v_mul_f32_e32 v110, v140, v147
	v_fma_f32 v109, v140, v146, -v109
	v_fmac_f32_e32 v110, v141, v146
	s_waitcnt vmcnt(9) lgkmcnt(0)
	v_mul_f32_e32 v138, v143, v149
	v_fma_f32 v146, v142, v148, -v138
	ds_read2_b64 v[138:141], v117 offset0:12 offset1:255
	v_mul_f32_e32 v147, v142, v149
	s_waitcnt vmcnt(8)
	v_mul_f32_e32 v142, v145, v151
	v_fmac_f32_e32 v147, v143, v148
	v_fma_f32 v148, v144, v150, -v142
	v_mul_f32_e32 v149, v144, v151
	s_waitcnt vmcnt(7) lgkmcnt(0)
	v_mul_f32_e32 v142, v139, v153
	v_fmac_f32_e32 v149, v145, v150
	v_fma_f32 v150, v138, v152, -v142
	ds_read2_b64 v[142:145], v116 offset0:2 offset1:245
	v_mul_f32_e32 v151, v138, v153
	s_waitcnt vmcnt(6)
	v_mul_f32_e32 v138, v141, v155
	v_fmac_f32_e32 v151, v139, v152
	v_fma_f32 v152, v140, v154, -v138
	v_mul_f32_e32 v153, v140, v155
	s_waitcnt vmcnt(5) lgkmcnt(0)
	v_mul_f32_e32 v138, v143, v157
	v_fmac_f32_e32 v153, v141, v154
	;; [unrolled: 11-line block ×3, first 2 shown]
	v_fma_f32 v158, v138, v160, -v142
	ds_read2_b64 v[142:145], v114 offset0:6 offset1:249
	v_mul_f32_e32 v159, v138, v161
	v_fmac_f32_e32 v159, v139, v160
	s_waitcnt vmcnt(2)
	v_mul_f32_e32 v138, v141, v163
	v_mul_f32_e32 v139, v140, v163
	v_fma_f32 v138, v140, v162, -v138
	v_fmac_f32_e32 v139, v141, v162
	s_waitcnt vmcnt(1) lgkmcnt(0)
	v_mul_f32_e32 v140, v143, v165
	v_mul_f32_e32 v141, v142, v165
	v_fma_f32 v140, v142, v164, -v140
	v_fmac_f32_e32 v141, v143, v164
	s_waitcnt vmcnt(0)
	v_mul_f32_e32 v142, v145, v125
	v_mul_f32_e32 v143, v144, v125
	v_fma_f32 v142, v144, v124, -v142
	v_fmac_f32_e32 v143, v145, v124
	v_add_u32_e32 v124, 0x780, v113
	ds_write2_b64 v124, v[109:110], v[146:147] offset0:3 offset1:246
	v_add_u32_e32 v109, 0x1680, v113
	ds_write2_b64 v109, v[148:149], v[150:151] offset0:9 offset1:252
	;; [unrolled: 2-line block ×3, first 2 shown]
	ds_write2_b64 v137, v[152:153], v[154:155] offset0:7 offset1:250
	ds_write2_b64 v136, v[138:139], v[140:141] offset0:11 offset1:254
	ds_write_b64 v113, v[142:143] offset:21384
	s_waitcnt lgkmcnt(0)
	s_barrier
	ds_read2_b64 v[138:141], v116 offset0:2 offset1:245
	ds_read2_b64 v[142:145], v114 offset0:6 offset1:249
	;; [unrolled: 1-line block ×3, first 2 shown]
	ds_read2_b64 v[150:153], v113 offset1:243
	ds_read2_b64 v[154:157], v117 offset0:12 offset1:255
	ds_read2_b64 v[158:161], v115 offset0:8 offset1:251
	s_waitcnt lgkmcnt(0)
	s_barrier
	v_add_f32_e32 v125, v139, v143
	v_add_f32_e32 v109, v138, v142
	v_fma_f32 v125, -0.5, v125, v147
	v_fma_f32 v109, -0.5, v109, v146
	v_sub_f32_e32 v166, v138, v142
	v_mov_b32_e32 v162, v125
	v_sub_f32_e32 v110, v139, v143
	v_mov_b32_e32 v124, v109
	v_fmac_f32_e32 v162, 0x3f5db3d7, v166
	v_fmac_f32_e32 v124, 0xbf5db3d7, v110
	v_mul_f32_e32 v167, 0xbf5db3d7, v162
	v_mul_f32_e32 v168, 0.5, v162
	v_add_f32_e32 v162, v154, v158
	v_fmac_f32_e32 v167, 0.5, v124
	v_fmac_f32_e32 v168, 0x3f5db3d7, v124
	v_add_f32_e32 v124, v150, v154
	v_fma_f32 v150, -0.5, v162, v150
	v_sub_f32_e32 v169, v155, v159
	v_add_f32_e32 v162, v151, v155
	v_add_f32_e32 v155, v155, v159
	v_fma_f32 v151, -0.5, v155, v151
	v_mov_b32_e32 v170, v150
	v_sub_f32_e32 v154, v154, v158
	v_mov_b32_e32 v155, v151
	v_add_f32_e32 v138, v146, v138
	v_add_f32_e32 v139, v147, v139
	;; [unrolled: 1-line block ×3, first 2 shown]
	v_fmac_f32_e32 v170, 0xbf5db3d7, v169
	v_add_f32_e32 v171, v162, v159
	v_fmac_f32_e32 v155, 0x3f5db3d7, v154
	v_add_f32_e32 v138, v138, v142
	v_add_f32_e32 v139, v139, v143
	;; [unrolled: 1-line block ×6, first 2 shown]
	v_fmac_f32_e32 v125, 0xbf5db3d7, v166
	ds_write_b128 v130, v[162:165]
	v_sub_f32_e32 v164, v124, v138
	v_fmac_f32_e32 v109, 0x3f5db3d7, v110
	v_mul_f32_e32 v110, 0xbf5db3d7, v125
	v_mul_f32_e32 v124, -0.5, v125
	v_fmac_f32_e32 v150, 0x3f5db3d7, v169
	v_fmac_f32_e32 v151, 0xbf5db3d7, v154
	v_fmac_f32_e32 v110, -0.5, v109
	v_fmac_f32_e32 v124, 0x3f5db3d7, v109
	v_sub_f32_e32 v165, v171, v139
	v_add_f32_e32 v162, v150, v110
	v_add_f32_e32 v163, v151, v124
	ds_write_b128 v130, v[162:165] offset:16
	v_sub_f32_e32 v162, v170, v167
	v_sub_f32_e32 v164, v150, v110
	;; [unrolled: 1-line block ×5, first 2 shown]
	v_add_f32_e32 v146, v149, v141
	v_add_f32_e32 v141, v141, v145
	ds_write_b128 v130, v[162:165] offset:32
	v_add_f32_e32 v130, v157, v161
	v_add_f32_e32 v139, v140, v144
	v_fmac_f32_e32 v149, -0.5, v141
	v_add_f32_e32 v110, v156, v160
	v_add_f32_e32 v125, v153, v157
	;; [unrolled: 1-line block ×3, first 2 shown]
	v_sub_f32_e32 v147, v140, v144
	v_fmac_f32_e32 v153, -0.5, v130
	v_fma_f32 v130, -0.5, v139, v148
	v_mov_b32_e32 v139, v149
	v_add_f32_e32 v144, v138, v144
	v_mov_b32_e32 v138, v130
	v_fmac_f32_e32 v139, 0x3f5db3d7, v147
	v_fma_f32 v110, -0.5, v110, v152
	v_add_f32_e32 v109, v152, v156
	v_sub_f32_e32 v124, v157, v161
	v_sub_f32_e32 v142, v156, v160
	v_add_f32_e32 v145, v146, v145
	v_fmac_f32_e32 v138, 0xbf5db3d7, v143
	v_mul_f32_e32 v146, 0xbf5db3d7, v139
	v_mul_f32_e32 v148, 0.5, v139
	v_mov_b32_e32 v150, v110
	v_mov_b32_e32 v151, v153
	v_fmac_f32_e32 v149, 0xbf5db3d7, v147
	v_add_f32_e32 v109, v109, v160
	v_add_f32_e32 v125, v125, v161
	v_fmac_f32_e32 v146, 0.5, v138
	v_fmac_f32_e32 v148, 0x3f5db3d7, v138
	v_fmac_f32_e32 v150, 0xbf5db3d7, v124
	;; [unrolled: 1-line block ×3, first 2 shown]
	v_mul_f32_e32 v147, 0xbf5db3d7, v149
	v_mul_f32_e32 v149, -0.5, v149
	v_fmac_f32_e32 v130, 0x3f5db3d7, v143
	v_add_f32_e32 v138, v109, v144
	v_add_f32_e32 v140, v150, v146
	;; [unrolled: 1-line block ×4, first 2 shown]
	v_fmac_f32_e32 v110, 0x3f5db3d7, v124
	v_fmac_f32_e32 v153, 0xbf5db3d7, v142
	v_fmac_f32_e32 v147, -0.5, v130
	v_fmac_f32_e32 v149, 0x3f5db3d7, v130
	ds_write_b128 v129, v[138:141]
	v_sub_f32_e32 v140, v109, v144
	v_sub_f32_e32 v141, v125, v145
	v_add_f32_e32 v138, v110, v147
	v_add_f32_e32 v139, v153, v149
	ds_write_b128 v129, v[138:141] offset:16
	v_sub_f32_e32 v141, v153, v149
	v_sub_f32_e32 v138, v150, v146
	;; [unrolled: 1-line block ×4, first 2 shown]
	ds_write_b128 v129, v[138:141] offset:32
	s_waitcnt lgkmcnt(0)
	s_barrier
	ds_read2_b64 v[138:141], v118 offset0:6 offset1:249
	ds_read2_b64 v[142:145], v117 offset0:12 offset1:255
	s_waitcnt lgkmcnt(1)
	v_mul_f32_e32 v109, v41, v139
	v_mul_f32_e32 v41, v41, v138
	v_fmac_f32_e32 v109, v40, v138
	v_fma_f32 v110, v40, v139, -v41
	s_waitcnt lgkmcnt(0)
	v_mul_f32_e32 v40, v43, v142
	v_mul_f32_e32 v124, v43, v143
	v_fma_f32 v125, v42, v143, -v40
	v_mul_f32_e32 v129, v45, v141
	v_mul_f32_e32 v40, v45, v140
	v_fmac_f32_e32 v124, v42, v142
	v_fmac_f32_e32 v129, v44, v140
	v_fma_f32 v130, v44, v141, -v40
	v_mul_f32_e32 v138, v47, v145
	ds_read2_b64 v[40:43], v116 offset0:2 offset1:245
	v_mul_f32_e32 v44, v47, v144
	v_fmac_f32_e32 v138, v46, v144
	v_fma_f32 v139, v46, v145, -v44
	ds_read2_b64 v[44:47], v115 offset0:8 offset1:251
	s_waitcnt lgkmcnt(1)
	v_mul_f32_e32 v140, v33, v41
	v_mul_f32_e32 v33, v33, v40
	v_fmac_f32_e32 v140, v32, v40
	v_fma_f32 v40, v32, v41, -v33
	s_waitcnt lgkmcnt(0)
	v_mul_f32_e32 v41, v35, v45
	v_mul_f32_e32 v32, v35, v44
	v_fmac_f32_e32 v41, v34, v44
	v_fma_f32 v44, v34, v45, -v32
	v_mul_f32_e32 v45, v37, v43
	v_mul_f32_e32 v32, v37, v42
	v_fmac_f32_e32 v45, v36, v42
	v_fma_f32 v42, v36, v43, -v32
	ds_read2_b64 v[32:35], v114 offset0:6 offset1:249
	v_mul_f32_e32 v43, v39, v47
	v_mul_f32_e32 v36, v39, v46
	v_fmac_f32_e32 v43, v38, v46
	v_fma_f32 v46, v38, v47, -v36
	ds_read2_b64 v[36:39], v113 offset1:243
	s_waitcnt lgkmcnt(1)
	v_mul_f32_e32 v47, v106, v33
	v_fmac_f32_e32 v47, v105, v32
	v_mul_f32_e32 v32, v106, v32
	v_fma_f32 v32, v105, v33, -v32
	v_mul_f32_e32 v105, v108, v35
	v_mul_f32_e32 v33, v108, v34
	v_fmac_f32_e32 v105, v107, v34
	v_fma_f32 v106, v107, v35, -v33
	s_waitcnt lgkmcnt(0)
	v_add_f32_e32 v33, v37, v125
	v_add_f32_e32 v34, v36, v124
	;; [unrolled: 1-line block ×3, first 2 shown]
	v_sub_f32_e32 v108, v125, v44
	v_add_f32_e32 v33, v125, v44
	v_add_f32_e32 v44, v34, v41
	;; [unrolled: 1-line block ×3, first 2 shown]
	v_sub_f32_e32 v41, v124, v41
	v_add_f32_e32 v124, v140, v47
	v_add_f32_e32 v35, v109, v140
	v_fmac_f32_e32 v109, -0.5, v124
	v_add_f32_e32 v124, v110, v40
	v_add_f32_e32 v124, v124, v32
	v_sub_f32_e32 v125, v40, v32
	v_add_f32_e32 v32, v40, v32
	v_fmac_f32_e32 v110, -0.5, v32
	v_add_f32_e32 v40, v35, v47
	v_sub_f32_e32 v47, v140, v47
	v_mov_b32_e32 v35, v110
	v_mov_b32_e32 v32, v109
	v_fmac_f32_e32 v35, 0x3f5db3d7, v47
	v_fma_f32 v36, -0.5, v34, v36
	v_fma_f32 v37, -0.5, v33, v37
	v_fmac_f32_e32 v32, 0xbf5db3d7, v125
	v_mul_f32_e32 v140, 0xbf5db3d7, v35
	v_mul_f32_e32 v141, 0.5, v35
	v_mov_b32_e32 v142, v36
	v_mov_b32_e32 v143, v37
	v_fmac_f32_e32 v140, 0.5, v32
	v_fmac_f32_e32 v141, 0x3f5db3d7, v32
	v_fmac_f32_e32 v142, 0xbf5db3d7, v108
	;; [unrolled: 1-line block ×3, first 2 shown]
	v_add_f32_e32 v32, v44, v40
	v_add_f32_e32 v33, v107, v124
	;; [unrolled: 1-line block ×4, first 2 shown]
	v_fmac_f32_e32 v110, 0xbf5db3d7, v47
	s_barrier
	ds_write2_b64 v128, v[32:33], v[34:35] offset1:6
	v_sub_f32_e32 v32, v44, v40
	v_fmac_f32_e32 v37, 0xbf5db3d7, v41
	v_fmac_f32_e32 v109, 0x3f5db3d7, v125
	v_mul_f32_e32 v40, 0xbf5db3d7, v110
	v_mul_f32_e32 v41, -0.5, v110
	v_fmac_f32_e32 v36, 0x3f5db3d7, v108
	v_fmac_f32_e32 v40, -0.5, v109
	v_fmac_f32_e32 v41, 0x3f5db3d7, v109
	v_sub_f32_e32 v33, v107, v124
	v_add_f32_e32 v34, v36, v40
	v_add_f32_e32 v35, v37, v41
	ds_write2_b64 v128, v[34:35], v[32:33] offset0:12 offset1:18
	v_sub_f32_e32 v32, v142, v140
	v_sub_f32_e32 v33, v143, v141
	;; [unrolled: 1-line block ×4, first 2 shown]
	ds_write2_b64 v128, v[32:33], v[34:35] offset0:24 offset1:30
	v_add_f32_e32 v32, v139, v46
	v_add_f32_e32 v36, v39, v139
	v_fmac_f32_e32 v39, -0.5, v32
	v_add_f32_e32 v32, v45, v105
	v_add_f32_e32 v37, v129, v45
	v_fmac_f32_e32 v129, -0.5, v32
	;; [unrolled: 3-line block ×3, first 2 shown]
	v_sub_f32_e32 v45, v45, v105
	v_add_f32_e32 v32, v138, v43
	v_sub_f32_e32 v42, v42, v106
	v_mov_b32_e32 v107, v130
	v_fmac_f32_e32 v130, 0xbf5db3d7, v45
	v_fma_f32 v34, -0.5, v32, v38
	v_sub_f32_e32 v41, v138, v43
	v_mov_b32_e32 v47, v129
	v_fmac_f32_e32 v129, 0x3f5db3d7, v42
	v_mul_f32_e32 v32, -0.5, v130
	v_mov_b32_e32 v44, v39
	v_fmac_f32_e32 v39, 0xbf5db3d7, v41
	v_fmac_f32_e32 v32, 0x3f5db3d7, v129
	v_add_f32_e32 v38, v38, v138
	v_add_f32_e32 v33, v39, v32
	v_sub_f32_e32 v35, v39, v32
	v_mul_f32_e32 v39, 0xbf5db3d7, v130
	v_sub_f32_e32 v108, v139, v46
	v_fmac_f32_e32 v39, -0.5, v129
	v_mov_b32_e32 v109, v34
	v_fmac_f32_e32 v34, 0x3f5db3d7, v108
	v_add_f32_e32 v38, v38, v43
	v_add_f32_e32 v43, v37, v105
	v_fmac_f32_e32 v107, 0x3f5db3d7, v45
	v_add_f32_e32 v32, v34, v39
	v_sub_f32_e32 v34, v34, v39
	v_add_f32_e32 v39, v36, v46
	v_add_f32_e32 v36, v38, v43
	v_sub_f32_e32 v38, v38, v43
	v_fmac_f32_e32 v47, 0xbf5db3d7, v42
	v_mul_f32_e32 v42, 0xbf5db3d7, v107
	v_mul_f32_e32 v43, 0.5, v107
	v_add_f32_e32 v40, v40, v106
	v_fmac_f32_e32 v109, 0xbf5db3d7, v108
	v_fmac_f32_e32 v44, 0x3f5db3d7, v41
	v_fmac_f32_e32 v42, 0.5, v47
	v_fmac_f32_e32 v43, 0x3f5db3d7, v47
	v_add_f32_e32 v37, v39, v40
	v_sub_f32_e32 v39, v39, v40
	v_add_f32_e32 v40, v109, v42
	v_add_f32_e32 v41, v44, v43
	v_sub_f32_e32 v42, v109, v42
	v_sub_f32_e32 v43, v44, v43
	ds_write2_b64 v123, v[36:37], v[40:41] offset1:6
	ds_write2_b64 v123, v[32:33], v[38:39] offset0:12 offset1:18
	ds_write2_b64 v123, v[42:43], v[34:35] offset0:24 offset1:30
	s_waitcnt lgkmcnt(0)
	s_barrier
	ds_read2_b64 v[32:35], v117 offset0:12 offset1:255
	ds_read2_b64 v[36:39], v115 offset0:8 offset1:251
	s_waitcnt lgkmcnt(1)
	v_mul_f32_e32 v40, v17, v33
	v_mul_f32_e32 v17, v17, v32
	v_fmac_f32_e32 v40, v16, v32
	v_fma_f32 v32, v16, v33, -v17
	s_waitcnt lgkmcnt(0)
	v_mul_f32_e32 v33, v19, v37
	v_mul_f32_e32 v16, v19, v36
	v_fmac_f32_e32 v33, v18, v36
	v_fma_f32 v36, v18, v37, -v16
	v_mul_f32_e32 v37, v21, v35
	v_mul_f32_e32 v16, v21, v34
	v_fmac_f32_e32 v37, v20, v34
	v_fma_f32 v34, v20, v35, -v16
	ds_read2_b64 v[16:19], v116 offset0:2 offset1:245
	v_mul_f32_e32 v35, v23, v39
	v_mul_f32_e32 v20, v23, v38
	v_fmac_f32_e32 v35, v22, v38
	v_fma_f32 v38, v22, v39, -v20
	ds_read2_b64 v[20:23], v114 offset0:6 offset1:249
	s_waitcnt lgkmcnt(1)
	v_mul_f32_e32 v39, v25, v17
	v_fmac_f32_e32 v39, v24, v16
	v_mul_f32_e32 v16, v25, v16
	v_fma_f32 v41, v24, v17, -v16
	s_waitcnt lgkmcnt(0)
	v_mul_f32_e32 v16, v27, v20
	v_fma_f32 v43, v26, v21, -v16
	v_mul_f32_e32 v44, v29, v19
	v_mul_f32_e32 v16, v29, v18
	v_fmac_f32_e32 v44, v28, v18
	v_fma_f32 v45, v28, v19, -v16
	ds_read2_b64 v[16:19], v113 offset1:243
	v_mul_f32_e32 v42, v27, v21
	v_fmac_f32_e32 v42, v26, v20
	v_mul_f32_e32 v20, v31, v22
	v_fma_f32 v47, v30, v23, -v20
	s_waitcnt lgkmcnt(0)
	v_add_f32_e32 v20, v16, v40
	v_add_f32_e32 v24, v20, v33
	v_add_f32_e32 v20, v40, v33
	v_fma_f32 v26, -0.5, v20, v16
	v_sub_f32_e32 v20, v32, v36
	v_mov_b32_e32 v16, v26
	v_fmac_f32_e32 v16, 0xbf5db3d7, v20
	v_fmac_f32_e32 v26, 0x3f5db3d7, v20
	v_add_f32_e32 v20, v17, v32
	v_add_f32_e32 v25, v20, v36
	;; [unrolled: 1-line block ×3, first 2 shown]
	v_fma_f32 v27, -0.5, v20, v17
	v_sub_f32_e32 v20, v40, v33
	v_mov_b32_e32 v17, v27
	v_fmac_f32_e32 v17, 0x3f5db3d7, v20
	v_fmac_f32_e32 v27, 0xbf5db3d7, v20
	v_add_f32_e32 v20, v18, v37
	v_add_f32_e32 v28, v20, v35
	;; [unrolled: 1-line block ×3, first 2 shown]
	v_mul_f32_e32 v46, v31, v23
	v_fma_f32 v18, -0.5, v20, v18
	v_fmac_f32_e32 v46, v30, v22
	v_sub_f32_e32 v20, v34, v38
	v_mov_b32_e32 v30, v18
	v_fmac_f32_e32 v30, 0xbf5db3d7, v20
	v_fmac_f32_e32 v18, 0x3f5db3d7, v20
	v_add_f32_e32 v20, v19, v34
	v_add_f32_e32 v29, v20, v38
	ds_read2_b64 v[20:23], v118 offset0:6 offset1:249
	v_add_f32_e32 v31, v34, v38
	v_fmac_f32_e32 v19, -0.5, v31
	v_sub_f32_e32 v32, v37, v35
	v_mov_b32_e32 v31, v19
	v_fmac_f32_e32 v31, 0x3f5db3d7, v32
	v_fmac_f32_e32 v19, 0xbf5db3d7, v32
	v_add_f32_e32 v32, v39, v42
	s_waitcnt lgkmcnt(0)
	v_fma_f32 v32, -0.5, v32, v20
	v_add_f32_e32 v20, v20, v39
	v_add_f32_e32 v36, v20, v42
	;; [unrolled: 1-line block ×3, first 2 shown]
	v_sub_f32_e32 v33, v41, v43
	v_mov_b32_e32 v34, v32
	v_add_f32_e32 v37, v20, v43
	v_add_f32_e32 v20, v41, v43
	v_fmac_f32_e32 v34, 0xbf5db3d7, v33
	v_fmac_f32_e32 v32, 0x3f5db3d7, v33
	v_fma_f32 v33, -0.5, v20, v21
	v_sub_f32_e32 v20, v39, v42
	v_mov_b32_e32 v35, v33
	s_barrier
	ds_write2_b64 v122, v[24:25], v[16:17] offset1:36
	v_add_f32_e32 v16, v44, v46
	v_fmac_f32_e32 v35, 0x3f5db3d7, v20
	v_fmac_f32_e32 v33, 0xbf5db3d7, v20
	v_add_f32_e32 v20, v22, v44
	v_fma_f32 v22, -0.5, v16, v22
	v_sub_f32_e32 v16, v45, v47
	v_mov_b32_e32 v24, v22
	v_add_f32_e32 v25, v45, v47
	v_fmac_f32_e32 v24, 0xbf5db3d7, v16
	v_fmac_f32_e32 v22, 0x3f5db3d7, v16
	v_add_f32_e32 v16, v23, v45
	v_fmac_f32_e32 v23, -0.5, v25
	v_sub_f32_e32 v38, v44, v46
	v_mov_b32_e32 v25, v23
	v_add_f32_e32 v20, v20, v46
	v_add_f32_e32 v21, v16, v47
	v_fmac_f32_e32 v25, 0x3f5db3d7, v38
	v_fmac_f32_e32 v23, 0xbf5db3d7, v38
	ds_write_b64 v122, v[26:27] offset:576
	ds_write2_b64 v119, v[28:29], v[30:31] offset1:36
	ds_write_b64 v119, v[18:19] offset:576
	ds_write2_b64 v120, v[36:37], v[34:35] offset1:36
	ds_write_b64 v120, v[32:33] offset:576
	ds_write2_b64 v121, v[20:21], v[24:25] offset1:36
	ds_write_b64 v121, v[22:23] offset:576
	s_waitcnt lgkmcnt(0)
	s_barrier
	ds_read2_b64 v[18:21], v113 offset1:243
	ds_read2_b64 v[22:25], v117 offset0:12 offset1:255
	ds_read2_b64 v[26:29], v115 offset0:8 offset1:251
	ds_read2_b64 v[30:33], v118 offset0:6 offset1:249
	ds_read2_b64 v[34:37], v116 offset0:2 offset1:245
	ds_read2_b64 v[38:41], v114 offset0:6 offset1:249
	s_waitcnt lgkmcnt(4)
	v_mul_f32_e32 v42, v5, v23
	v_mul_f32_e32 v5, v5, v22
	v_fma_f32 v5, v4, v23, -v5
	v_mul_f32_e32 v23, v1, v25
	v_mul_f32_e32 v1, v1, v24
	v_fmac_f32_e32 v42, v4, v22
	s_waitcnt lgkmcnt(3)
	v_mul_f32_e32 v22, v7, v27
	v_fmac_f32_e32 v23, v0, v24
	v_fma_f32 v24, v0, v25, -v1
	v_mul_f32_e32 v0, v3, v28
	v_fmac_f32_e32 v22, v6, v26
	v_mul_f32_e32 v4, v7, v26
	v_mul_f32_e32 v25, v3, v29
	v_fma_f32 v26, v2, v29, -v0
	s_waitcnt lgkmcnt(1)
	v_mul_f32_e32 v0, v13, v34
	v_fma_f32 v6, v6, v27, -v4
	v_fmac_f32_e32 v25, v2, v28
	v_mul_f32_e32 v27, v13, v35
	v_fma_f32 v13, v12, v35, -v0
	s_waitcnt lgkmcnt(0)
	v_mul_f32_e32 v28, v15, v39
	v_mul_f32_e32 v0, v15, v38
	v_fmac_f32_e32 v27, v12, v34
	v_fmac_f32_e32 v28, v14, v38
	v_fma_f32 v15, v14, v39, -v0
	v_mul_f32_e32 v0, v9, v36
	v_fma_f32 v34, v8, v37, -v0
	v_mul_f32_e32 v35, v11, v41
	v_mul_f32_e32 v0, v11, v40
	v_add_f32_e32 v1, v42, v22
	v_add_f32_e32 v11, v27, v28
	v_fma_f32 v2, -0.5, v1, v18
	v_fma_f32 v12, -0.5, v11, v30
	v_sub_f32_e32 v1, v5, v6
	v_mov_b32_e32 v4, v2
	v_add_f32_e32 v3, v5, v6
	v_sub_f32_e32 v11, v13, v15
	v_mov_b32_e32 v14, v12
	v_mul_f32_e32 v29, v9, v37
	v_fmac_f32_e32 v4, 0xbf5db3d7, v1
	v_fmac_f32_e32 v2, 0x3f5db3d7, v1
	v_add_f32_e32 v1, v19, v5
	v_fma_f32 v3, -0.5, v3, v19
	v_fmac_f32_e32 v14, 0xbf5db3d7, v11
	v_fmac_f32_e32 v12, 0x3f5db3d7, v11
	v_add_f32_e32 v11, v31, v13
	v_add_f32_e32 v13, v13, v15
	v_fmac_f32_e32 v29, v8, v36
	v_fmac_f32_e32 v35, v10, v40
	v_add_f32_e32 v1, v1, v6
	v_sub_f32_e32 v6, v42, v22
	v_mov_b32_e32 v5, v3
	v_add_f32_e32 v7, v23, v25
	v_fma_f32 v13, -0.5, v13, v31
	v_fma_f32 v36, v10, v41, -v0
	v_add_f32_e32 v0, v18, v42
	v_fmac_f32_e32 v5, 0x3f5db3d7, v6
	v_fmac_f32_e32 v3, 0xbf5db3d7, v6
	v_add_f32_e32 v6, v20, v23
	v_fma_f32 v20, -0.5, v7, v20
	v_add_f32_e32 v11, v11, v15
	v_sub_f32_e32 v18, v27, v28
	v_mov_b32_e32 v15, v13
	v_add_f32_e32 v19, v29, v35
	v_sub_f32_e32 v7, v24, v26
	v_mov_b32_e32 v8, v20
	v_add_f32_e32 v9, v24, v26
	v_fmac_f32_e32 v15, 0x3f5db3d7, v18
	v_fmac_f32_e32 v13, 0xbf5db3d7, v18
	v_add_f32_e32 v18, v32, v29
	v_fma_f32 v32, -0.5, v19, v32
	v_add_f32_e32 v0, v0, v22
	v_fmac_f32_e32 v8, 0xbf5db3d7, v7
	v_fmac_f32_e32 v20, 0x3f5db3d7, v7
	v_add_f32_e32 v7, v21, v24
	v_fmac_f32_e32 v21, -0.5, v9
	v_sub_f32_e32 v10, v23, v25
	v_sub_f32_e32 v19, v34, v36
	v_mov_b32_e32 v22, v32
	v_add_f32_e32 v23, v34, v36
	v_mov_b32_e32 v9, v21
	v_fmac_f32_e32 v22, 0xbf5db3d7, v19
	v_fmac_f32_e32 v32, 0x3f5db3d7, v19
	v_add_f32_e32 v19, v33, v34
	v_fmac_f32_e32 v33, -0.5, v23
	v_fmac_f32_e32 v9, 0x3f5db3d7, v10
	v_fmac_f32_e32 v21, 0xbf5db3d7, v10
	v_add_f32_e32 v10, v30, v27
	v_sub_f32_e32 v24, v29, v35
	v_mov_b32_e32 v23, v33
	v_add_f32_e32 v6, v6, v25
	v_add_f32_e32 v7, v7, v26
	;; [unrolled: 1-line block ×5, first 2 shown]
	v_fmac_f32_e32 v23, 0x3f5db3d7, v24
	v_fmac_f32_e32 v33, 0xbf5db3d7, v24
	s_barrier
	ds_write2_b64 v126, v[0:1], v[4:5] offset1:108
	ds_write_b64 v126, v[2:3] offset:1728
	ds_write2_b64 v127, v[6:7], v[8:9] offset1:108
	ds_write_b64 v127, v[20:21] offset:1728
	;; [unrolled: 2-line block ×4, first 2 shown]
	s_waitcnt lgkmcnt(0)
	s_barrier
	ds_read2_b64 v[0:3], v113 offset1:243
	ds_read2_b64 v[4:7], v117 offset0:12 offset1:255
	ds_read2_b64 v[8:11], v115 offset0:8 offset1:251
	;; [unrolled: 1-line block ×5, first 2 shown]
	s_waitcnt lgkmcnt(4)
	v_mul_f32_e32 v26, v49, v5
	v_fmac_f32_e32 v26, v48, v4
	v_mul_f32_e32 v4, v49, v4
	v_fma_f32 v27, v48, v5, -v4
	s_waitcnt lgkmcnt(3)
	v_mul_f32_e32 v28, v51, v9
	v_mul_f32_e32 v4, v51, v8
	v_fmac_f32_e32 v28, v50, v8
	v_fma_f32 v8, v50, v9, -v4
	v_mul_f32_e32 v4, v53, v6
	v_fma_f32 v30, v52, v7, -v4
	v_mul_f32_e32 v4, v55, v10
	v_mul_f32_e32 v31, v55, v11
	v_fma_f32 v11, v54, v11, -v4
	s_waitcnt lgkmcnt(1)
	v_mul_f32_e32 v4, v61, v18
	v_fma_f32 v33, v60, v19, -v4
	s_waitcnt lgkmcnt(0)
	v_mul_f32_e32 v34, v63, v23
	v_mul_f32_e32 v4, v63, v22
	v_fmac_f32_e32 v34, v62, v22
	v_fma_f32 v22, v62, v23, -v4
	v_mul_f32_e32 v4, v57, v20
	v_fma_f32 v36, v56, v21, -v4
	v_mul_f32_e32 v4, v59, v24
	v_add_f32_e32 v5, v26, v28
	v_mul_f32_e32 v29, v53, v7
	v_mul_f32_e32 v37, v59, v25
	v_fma_f32 v25, v58, v25, -v4
	v_add_f32_e32 v4, v0, v26
	v_fma_f32 v0, -0.5, v5, v0
	v_fmac_f32_e32 v29, v52, v6
	v_sub_f32_e32 v5, v27, v8
	v_mov_b32_e32 v6, v0
	v_add_f32_e32 v7, v27, v8
	v_fmac_f32_e32 v31, v54, v10
	v_fmac_f32_e32 v6, 0xbf5db3d7, v5
	;; [unrolled: 1-line block ×3, first 2 shown]
	v_add_f32_e32 v5, v1, v27
	v_fma_f32 v1, -0.5, v7, v1
	v_add_f32_e32 v5, v5, v8
	v_sub_f32_e32 v8, v26, v28
	v_mov_b32_e32 v7, v1
	v_add_f32_e32 v9, v29, v31
	v_fmac_f32_e32 v7, 0x3f5db3d7, v8
	v_fmac_f32_e32 v1, 0xbf5db3d7, v8
	v_add_f32_e32 v8, v2, v29
	v_fma_f32 v2, -0.5, v9, v2
	v_sub_f32_e32 v9, v30, v11
	v_mov_b32_e32 v10, v2
	v_fmac_f32_e32 v10, 0xbf5db3d7, v9
	v_fmac_f32_e32 v2, 0x3f5db3d7, v9
	v_add_f32_e32 v9, v3, v30
	v_mul_f32_e32 v32, v61, v19
	v_add_f32_e32 v9, v9, v11
	v_add_f32_e32 v11, v30, v11
	v_fmac_f32_e32 v32, v60, v18
	v_fmac_f32_e32 v3, -0.5, v11
	v_sub_f32_e32 v18, v29, v31
	v_mov_b32_e32 v11, v3
	v_add_f32_e32 v19, v32, v34
	v_mul_f32_e32 v35, v57, v21
	v_fmac_f32_e32 v11, 0x3f5db3d7, v18
	v_fmac_f32_e32 v3, 0xbf5db3d7, v18
	v_add_f32_e32 v18, v12, v32
	v_fma_f32 v12, -0.5, v19, v12
	v_fmac_f32_e32 v35, v56, v20
	v_sub_f32_e32 v19, v33, v22
	v_mov_b32_e32 v20, v12
	v_add_f32_e32 v21, v33, v22
	v_fmac_f32_e32 v37, v58, v24
	v_fmac_f32_e32 v20, 0xbf5db3d7, v19
	;; [unrolled: 1-line block ×3, first 2 shown]
	v_add_f32_e32 v19, v13, v33
	v_fma_f32 v13, -0.5, v21, v13
	v_add_f32_e32 v19, v19, v22
	v_sub_f32_e32 v22, v32, v34
	v_mov_b32_e32 v21, v13
	v_add_f32_e32 v23, v35, v37
	v_fmac_f32_e32 v21, 0x3f5db3d7, v22
	v_fmac_f32_e32 v13, 0xbf5db3d7, v22
	v_add_f32_e32 v22, v14, v35
	v_fma_f32 v14, -0.5, v23, v14
	v_sub_f32_e32 v23, v36, v25
	v_mov_b32_e32 v24, v14
	v_fmac_f32_e32 v24, 0xbf5db3d7, v23
	v_fmac_f32_e32 v14, 0x3f5db3d7, v23
	v_add_f32_e32 v23, v15, v36
	v_add_f32_e32 v23, v23, v25
	;; [unrolled: 1-line block ×3, first 2 shown]
	v_fmac_f32_e32 v15, -0.5, v25
	v_sub_f32_e32 v26, v35, v37
	v_mov_b32_e32 v25, v15
	v_add_f32_e32 v4, v4, v28
	v_add_f32_e32 v8, v8, v31
	;; [unrolled: 1-line block ×4, first 2 shown]
	v_fmac_f32_e32 v25, 0x3f5db3d7, v26
	v_fmac_f32_e32 v15, 0xbf5db3d7, v26
	s_barrier
	ds_write_b64 v113, v[4:5]
	ds_write_b64 v113, v[6:7] offset:2592
	ds_write_b64 v113, v[0:1] offset:5184
	ds_write_b64 v133, v[8:9]
	ds_write_b64 v133, v[10:11] offset:2592
	ds_write_b64 v133, v[2:3] offset:5184
	;; [unrolled: 3-line block ×3, first 2 shown]
	ds_write_b64 v135, v[22:23] offset:15552
	ds_write_b64 v135, v[24:25] offset:18144
	;; [unrolled: 1-line block ×3, first 2 shown]
	s_waitcnt lgkmcnt(0)
	s_barrier
	ds_read2_b64 v[0:3], v113 offset1:243
	ds_read2_b64 v[4:7], v117 offset0:12 offset1:255
	ds_read2_b64 v[8:11], v115 offset0:8 offset1:251
	;; [unrolled: 1-line block ×5, first 2 shown]
	s_waitcnt lgkmcnt(4)
	v_mul_f32_e32 v26, v69, v5
	v_fmac_f32_e32 v26, v68, v4
	v_mul_f32_e32 v4, v69, v4
	v_fma_f32 v27, v68, v5, -v4
	s_waitcnt lgkmcnt(3)
	v_mul_f32_e32 v28, v71, v9
	v_mul_f32_e32 v4, v71, v8
	v_fmac_f32_e32 v28, v70, v8
	v_fma_f32 v8, v70, v9, -v4
	v_mul_f32_e32 v4, v65, v6
	v_fma_f32 v30, v64, v7, -v4
	v_mul_f32_e32 v4, v67, v10
	v_mul_f32_e32 v31, v67, v11
	v_fma_f32 v11, v66, v11, -v4
	s_waitcnt lgkmcnt(1)
	v_mul_f32_e32 v4, v77, v18
	v_fma_f32 v33, v76, v19, -v4
	s_waitcnt lgkmcnt(0)
	v_mul_f32_e32 v34, v79, v23
	v_mul_f32_e32 v4, v79, v22
	v_fmac_f32_e32 v34, v78, v22
	v_fma_f32 v22, v78, v23, -v4
	v_mul_f32_e32 v4, v73, v20
	v_fma_f32 v36, v72, v21, -v4
	v_mul_f32_e32 v4, v75, v24
	v_add_f32_e32 v5, v26, v28
	v_mul_f32_e32 v29, v65, v7
	v_mul_f32_e32 v37, v75, v25
	v_fma_f32 v25, v74, v25, -v4
	v_add_f32_e32 v4, v0, v26
	v_fma_f32 v0, -0.5, v5, v0
	v_fmac_f32_e32 v29, v64, v6
	v_sub_f32_e32 v5, v27, v8
	v_mov_b32_e32 v6, v0
	v_add_f32_e32 v7, v27, v8
	v_fmac_f32_e32 v31, v66, v10
	v_fmac_f32_e32 v6, 0xbf5db3d7, v5
	;; [unrolled: 1-line block ×3, first 2 shown]
	v_add_f32_e32 v5, v1, v27
	v_fma_f32 v1, -0.5, v7, v1
	v_add_f32_e32 v5, v5, v8
	v_sub_f32_e32 v8, v26, v28
	v_mov_b32_e32 v7, v1
	v_add_f32_e32 v9, v29, v31
	v_fmac_f32_e32 v7, 0x3f5db3d7, v8
	v_fmac_f32_e32 v1, 0xbf5db3d7, v8
	v_add_f32_e32 v8, v2, v29
	v_fma_f32 v2, -0.5, v9, v2
	v_sub_f32_e32 v9, v30, v11
	v_mov_b32_e32 v10, v2
	v_fmac_f32_e32 v10, 0xbf5db3d7, v9
	v_fmac_f32_e32 v2, 0x3f5db3d7, v9
	v_add_f32_e32 v9, v3, v30
	v_mul_f32_e32 v32, v77, v19
	v_add_f32_e32 v9, v9, v11
	v_add_f32_e32 v11, v30, v11
	v_fmac_f32_e32 v32, v76, v18
	v_fmac_f32_e32 v3, -0.5, v11
	v_sub_f32_e32 v18, v29, v31
	v_mov_b32_e32 v11, v3
	v_add_f32_e32 v19, v32, v34
	v_mul_f32_e32 v35, v73, v21
	v_fmac_f32_e32 v11, 0x3f5db3d7, v18
	v_fmac_f32_e32 v3, 0xbf5db3d7, v18
	v_add_f32_e32 v18, v12, v32
	v_fma_f32 v12, -0.5, v19, v12
	v_fmac_f32_e32 v35, v72, v20
	v_sub_f32_e32 v19, v33, v22
	v_mov_b32_e32 v20, v12
	v_add_f32_e32 v21, v33, v22
	v_fmac_f32_e32 v37, v74, v24
	v_fmac_f32_e32 v20, 0xbf5db3d7, v19
	;; [unrolled: 1-line block ×3, first 2 shown]
	v_add_f32_e32 v19, v13, v33
	v_fma_f32 v13, -0.5, v21, v13
	v_add_f32_e32 v19, v19, v22
	v_sub_f32_e32 v22, v32, v34
	v_mov_b32_e32 v21, v13
	v_add_f32_e32 v23, v35, v37
	v_fmac_f32_e32 v21, 0x3f5db3d7, v22
	v_fmac_f32_e32 v13, 0xbf5db3d7, v22
	v_add_f32_e32 v22, v14, v35
	v_fma_f32 v14, -0.5, v23, v14
	v_sub_f32_e32 v23, v36, v25
	v_mov_b32_e32 v24, v14
	v_fmac_f32_e32 v24, 0xbf5db3d7, v23
	v_fmac_f32_e32 v14, 0x3f5db3d7, v23
	v_add_f32_e32 v23, v15, v36
	v_add_f32_e32 v23, v23, v25
	;; [unrolled: 1-line block ×3, first 2 shown]
	v_fmac_f32_e32 v15, -0.5, v25
	v_mad_u64_u32 v[16:17], s[6:7], s2, v92, 0
	v_sub_f32_e32 v26, v35, v37
	v_mov_b32_e32 v25, v15
	v_add_f32_e32 v4, v4, v28
	v_add_f32_e32 v8, v8, v31
	;; [unrolled: 1-line block ×4, first 2 shown]
	v_fmac_f32_e32 v25, 0x3f5db3d7, v26
	v_fmac_f32_e32 v15, 0xbf5db3d7, v26
	ds_write_b64 v113, v[6:7] offset:7776
	ds_write_b64 v113, v[0:1] offset:15552
	ds_write2_b64 v113, v[4:5], v[8:9] offset1:243
	ds_write2_b64 v137, v[10:11], v[20:21] offset0:7 offset1:250
	ds_write2_b64 v136, v[2:3], v[12:13] offset0:11 offset1:254
	;; [unrolled: 1-line block ×3, first 2 shown]
	ds_write_b64 v113, v[24:25] offset:13608
	ds_write_b64 v113, v[14:15] offset:21384
	s_waitcnt lgkmcnt(0)
	s_barrier
	ds_read2_b64 v[0:3], v113 offset1:243
	v_mov_b32_e32 v4, v17
	v_mad_u64_u32 v[4:5], s[2:3], s3, v92, v[4:5]
	s_mov_b32 s2, 0xe0bf08c7
	s_waitcnt lgkmcnt(0)
	v_mul_f32_e32 v5, v104, v1
	v_fmac_f32_e32 v5, v103, v0
	v_cvt_f64_f32_e32 v[5:6], v5
	s_mov_b32 s3, 0x3f367980
	v_mul_f32_e32 v0, v104, v0
	v_mad_u64_u32 v[8:9], s[6:7], s0, v112, 0
	v_mul_f64 v[5:6], v[5:6], s[2:3]
	v_fma_f32 v0, v103, v1, -v0
	v_cvt_f64_f32_e32 v[0:1], v0
	v_mov_b32_e32 v17, v4
	v_mov_b32_e32 v4, v9
	;; [unrolled: 1-line block ×3, first 2 shown]
	v_mul_f64 v[0:1], v[0:1], s[2:3]
	s_mul_hi_u32 s5, s0, 0xf30
	v_mad_u64_u32 v[9:10], s[6:7], s1, v112, v[4:5]
	v_cvt_f32_f64_e32 v10, v[5:6]
	ds_read2_b64 v[4:7], v118 offset0:6 offset1:249
	ds_read2_b64 v[20:23], v114 offset0:6 offset1:249
	v_cvt_f32_f64_e32 v11, v[0:1]
	v_lshlrev_b64 v[0:1], 3, v[16:17]
	s_waitcnt lgkmcnt(1)
	v_mul_f32_e32 v12, v102, v5
	v_fmac_f32_e32 v12, v101, v4
	v_mul_f32_e32 v4, v102, v4
	v_fma_f32 v4, v101, v5, -v4
	v_cvt_f64_f32_e32 v[4:5], v4
	v_add_co_u32_e32 v15, vcc, s4, v0
	v_addc_co_u32_e32 v14, vcc, v14, v1, vcc
	v_lshlrev_b64 v[0:1], 3, v[8:9]
	v_mul_f64 v[4:5], v[4:5], s[2:3]
	v_add_co_u32_e32 v0, vcc, v15, v0
	v_addc_co_u32_e32 v1, vcc, v14, v1, vcc
	global_store_dwordx2 v[0:1], v[10:11], off
	ds_read2_b64 v[8:11], v117 offset0:12 offset1:255
	v_cvt_f64_f32_e32 v[12:13], v12
	v_cvt_f32_f64_e32 v17, v[4:5]
	s_mul_i32 s4, s1, 0xf30
	s_add_i32 s4, s5, s4
	s_waitcnt lgkmcnt(0)
	v_mul_f32_e32 v4, v100, v9
	v_mul_f64 v[12:13], v[12:13], s[2:3]
	v_fmac_f32_e32 v4, v99, v8
	v_cvt_f64_f32_e32 v[4:5], v4
	v_mul_f32_e32 v8, v100, v8
	v_fma_f32 v8, v99, v9, -v8
	v_cvt_f64_f32_e32 v[8:9], v8
	v_mul_f64 v[4:5], v[4:5], s[2:3]
	s_mul_i32 s5, s0, 0xf30
	v_cvt_f32_f64_e32 v16, v[12:13]
	ds_read2_b64 v[12:15], v116 offset0:2 offset1:245
	v_mov_b32_e32 v18, s4
	v_add_co_u32_e32 v0, vcc, s5, v0
	v_mul_f64 v[8:9], v[8:9], s[2:3]
	v_cvt_f32_f64_e32 v4, v[4:5]
	s_waitcnt lgkmcnt(0)
	v_mul_f32_e32 v5, v98, v13
	v_addc_co_u32_e32 v1, vcc, v1, v18, vcc
	v_fmac_f32_e32 v5, v97, v12
	global_store_dwordx2 v[0:1], v[16:17], off
	v_cvt_f64_f32_e32 v[16:17], v5
	v_mul_f32_e32 v5, v98, v12
	v_fma_f32 v5, v97, v13, -v5
	v_cvt_f64_f32_e32 v[12:13], v5
	v_cvt_f32_f64_e32 v5, v[8:9]
	v_mul_f64 v[8:9], v[16:17], s[2:3]
	v_add_co_u32_e32 v0, vcc, s5, v0
	v_mul_f64 v[12:13], v[12:13], s[2:3]
	v_addc_co_u32_e32 v1, vcc, v1, v18, vcc
	ds_read2_b64 v[16:19], v115 offset0:8 offset1:251
	global_store_dwordx2 v[0:1], v[4:5], off
	v_cvt_f32_f64_e32 v4, v[8:9]
	v_mov_b32_e32 v24, s4
	v_add_co_u32_e32 v0, vcc, s5, v0
	v_cvt_f32_f64_e32 v5, v[12:13]
	s_waitcnt lgkmcnt(0)
	v_mul_f32_e32 v8, v94, v17
	v_mul_f32_e32 v12, v94, v16
	v_fmac_f32_e32 v8, v93, v16
	v_fma_f32 v12, v93, v17, -v12
	v_cvt_f64_f32_e32 v[8:9], v8
	v_cvt_f64_f32_e32 v[12:13], v12
	v_addc_co_u32_e32 v1, vcc, v1, v24, vcc
	global_store_dwordx2 v[0:1], v[4:5], off
	v_mul_f64 v[4:5], v[8:9], s[2:3]
	v_mul_f64 v[8:9], v[12:13], s[2:3]
	v_mul_f32_e32 v12, v96, v21
	v_fmac_f32_e32 v12, v95, v20
	v_cvt_f64_f32_e32 v[12:13], v12
	v_mul_f32_e32 v16, v96, v20
	v_fma_f32 v16, v95, v21, -v16
	v_cvt_f64_f32_e32 v[16:17], v16
	v_cvt_f32_f64_e32 v4, v[4:5]
	v_cvt_f32_f64_e32 v5, v[8:9]
	v_mul_f64 v[8:9], v[12:13], s[2:3]
	v_mul_f64 v[12:13], v[16:17], s[2:3]
	v_mov_b32_e32 v16, s4
	v_add_co_u32_e32 v0, vcc, s5, v0
	v_addc_co_u32_e32 v1, vcc, v1, v16, vcc
	global_store_dwordx2 v[0:1], v[4:5], off
	v_cvt_f32_f64_e32 v4, v[8:9]
	v_mul_f32_e32 v8, v91, v3
	v_fmac_f32_e32 v8, v90, v2
	v_cvt_f64_f32_e32 v[8:9], v8
	v_mul_f32_e32 v2, v91, v2
	v_fma_f32 v2, v90, v3, -v2
	v_cvt_f32_f64_e32 v5, v[12:13]
	v_mov_b32_e32 v12, s4
	v_cvt_f64_f32_e32 v[2:3], v2
	v_add_co_u32_e32 v0, vcc, s5, v0
	v_addc_co_u32_e32 v1, vcc, v1, v12, vcc
	v_mul_f32_e32 v12, v89, v7
	v_mul_f64 v[8:9], v[8:9], s[2:3]
	v_fmac_f32_e32 v12, v88, v6
	v_mul_f32_e32 v6, v89, v6
	v_fma_f32 v6, v88, v7, -v6
	v_mul_f64 v[2:3], v[2:3], s[2:3]
	v_cvt_f64_f32_e32 v[6:7], v6
	v_cvt_f64_f32_e32 v[12:13], v12
	global_store_dwordx2 v[0:1], v[4:5], off
	v_cvt_f32_f64_e32 v4, v[8:9]
	v_mul_f64 v[6:7], v[6:7], s[2:3]
	v_mul_f64 v[8:9], v[12:13], s[2:3]
	v_mad_u64_u32 v[0:1], s[6:7], s0, v111, v[0:1]
	v_cvt_f32_f64_e32 v5, v[2:3]
	s_mulk_i32 s1, 0xbba8
	s_sub_i32 s0, s1, s0
	v_add_u32_e32 v1, s0, v1
	global_store_dwordx2 v[0:1], v[4:5], off
	v_cvt_f32_f64_e32 v3, v[6:7]
	v_mul_f32_e32 v4, v87, v11
	v_mul_f32_e32 v6, v87, v10
	v_fmac_f32_e32 v4, v86, v10
	v_fma_f32 v6, v86, v11, -v6
	v_cvt_f32_f64_e32 v2, v[8:9]
	v_cvt_f64_f32_e32 v[4:5], v4
	v_cvt_f64_f32_e32 v[6:7], v6
	v_mov_b32_e32 v8, s4
	v_add_co_u32_e32 v0, vcc, s5, v0
	v_addc_co_u32_e32 v1, vcc, v1, v8, vcc
	global_store_dwordx2 v[0:1], v[2:3], off
	v_mul_f64 v[2:3], v[4:5], s[2:3]
	v_mul_f64 v[4:5], v[6:7], s[2:3]
	v_mul_f32_e32 v6, v85, v15
	v_mul_f32_e32 v8, v85, v14
	v_fmac_f32_e32 v6, v84, v14
	v_fma_f32 v8, v84, v15, -v8
	v_cvt_f64_f32_e32 v[6:7], v6
	v_cvt_f64_f32_e32 v[8:9], v8
	v_cvt_f32_f64_e32 v2, v[2:3]
	v_cvt_f32_f64_e32 v3, v[4:5]
	v_mul_f64 v[4:5], v[6:7], s[2:3]
	v_mul_f64 v[6:7], v[8:9], s[2:3]
	v_mov_b32_e32 v8, s4
	v_add_co_u32_e32 v0, vcc, s5, v0
	v_addc_co_u32_e32 v1, vcc, v1, v8, vcc
	global_store_dwordx2 v[0:1], v[2:3], off
	v_cvt_f32_f64_e32 v2, v[4:5]
	v_cvt_f32_f64_e32 v3, v[6:7]
	v_mul_f32_e32 v4, v83, v19
	v_mul_f32_e32 v6, v83, v18
	v_fmac_f32_e32 v4, v82, v18
	v_fma_f32 v6, v82, v19, -v6
	v_cvt_f64_f32_e32 v[4:5], v4
	v_cvt_f64_f32_e32 v[6:7], v6
	v_add_co_u32_e32 v0, vcc, s5, v0
	v_addc_co_u32_e32 v1, vcc, v1, v8, vcc
	global_store_dwordx2 v[0:1], v[2:3], off
	v_mul_f64 v[2:3], v[4:5], s[2:3]
	v_mul_f64 v[4:5], v[6:7], s[2:3]
	v_mul_f32_e32 v6, v81, v23
	v_mul_f32_e32 v8, v81, v22
	v_fmac_f32_e32 v6, v80, v22
	v_fma_f32 v8, v80, v23, -v8
	v_cvt_f64_f32_e32 v[6:7], v6
	v_cvt_f64_f32_e32 v[8:9], v8
	v_cvt_f32_f64_e32 v2, v[2:3]
	v_cvt_f32_f64_e32 v3, v[4:5]
	v_mul_f64 v[4:5], v[6:7], s[2:3]
	v_mul_f64 v[6:7], v[8:9], s[2:3]
	v_mov_b32_e32 v8, s4
	v_add_co_u32_e32 v0, vcc, s5, v0
	v_addc_co_u32_e32 v1, vcc, v1, v8, vcc
	global_store_dwordx2 v[0:1], v[2:3], off
	v_cvt_f32_f64_e32 v2, v[4:5]
	v_cvt_f32_f64_e32 v3, v[6:7]
	v_mov_b32_e32 v4, s4
	v_add_co_u32_e32 v0, vcc, s5, v0
	v_addc_co_u32_e32 v1, vcc, v1, v4, vcc
	global_store_dwordx2 v[0:1], v[2:3], off
.LBB0_2:
	s_endpgm
	.section	.rodata,"a",@progbits
	.p2align	6, 0x0
	.amdhsa_kernel bluestein_single_back_len2916_dim1_sp_op_CI_CI
		.amdhsa_group_segment_fixed_size 23328
		.amdhsa_private_segment_fixed_size 0
		.amdhsa_kernarg_size 104
		.amdhsa_user_sgpr_count 6
		.amdhsa_user_sgpr_private_segment_buffer 1
		.amdhsa_user_sgpr_dispatch_ptr 0
		.amdhsa_user_sgpr_queue_ptr 0
		.amdhsa_user_sgpr_kernarg_segment_ptr 1
		.amdhsa_user_sgpr_dispatch_id 0
		.amdhsa_user_sgpr_flat_scratch_init 0
		.amdhsa_user_sgpr_private_segment_size 0
		.amdhsa_uses_dynamic_stack 0
		.amdhsa_system_sgpr_private_segment_wavefront_offset 0
		.amdhsa_system_sgpr_workgroup_id_x 1
		.amdhsa_system_sgpr_workgroup_id_y 0
		.amdhsa_system_sgpr_workgroup_id_z 0
		.amdhsa_system_sgpr_workgroup_info 0
		.amdhsa_system_vgpr_workitem_id 0
		.amdhsa_next_free_vgpr 172
		.amdhsa_next_free_sgpr 20
		.amdhsa_reserve_vcc 1
		.amdhsa_reserve_flat_scratch 0
		.amdhsa_float_round_mode_32 0
		.amdhsa_float_round_mode_16_64 0
		.amdhsa_float_denorm_mode_32 3
		.amdhsa_float_denorm_mode_16_64 3
		.amdhsa_dx10_clamp 1
		.amdhsa_ieee_mode 1
		.amdhsa_fp16_overflow 0
		.amdhsa_exception_fp_ieee_invalid_op 0
		.amdhsa_exception_fp_denorm_src 0
		.amdhsa_exception_fp_ieee_div_zero 0
		.amdhsa_exception_fp_ieee_overflow 0
		.amdhsa_exception_fp_ieee_underflow 0
		.amdhsa_exception_fp_ieee_inexact 0
		.amdhsa_exception_int_div_zero 0
	.end_amdhsa_kernel
	.text
.Lfunc_end0:
	.size	bluestein_single_back_len2916_dim1_sp_op_CI_CI, .Lfunc_end0-bluestein_single_back_len2916_dim1_sp_op_CI_CI
                                        ; -- End function
	.section	.AMDGPU.csdata,"",@progbits
; Kernel info:
; codeLenInByte = 11940
; NumSgprs: 24
; NumVgprs: 172
; ScratchSize: 0
; MemoryBound: 0
; FloatMode: 240
; IeeeMode: 1
; LDSByteSize: 23328 bytes/workgroup (compile time only)
; SGPRBlocks: 2
; VGPRBlocks: 42
; NumSGPRsForWavesPerEU: 24
; NumVGPRsForWavesPerEU: 172
; Occupancy: 1
; WaveLimiterHint : 1
; COMPUTE_PGM_RSRC2:SCRATCH_EN: 0
; COMPUTE_PGM_RSRC2:USER_SGPR: 6
; COMPUTE_PGM_RSRC2:TRAP_HANDLER: 0
; COMPUTE_PGM_RSRC2:TGID_X_EN: 1
; COMPUTE_PGM_RSRC2:TGID_Y_EN: 0
; COMPUTE_PGM_RSRC2:TGID_Z_EN: 0
; COMPUTE_PGM_RSRC2:TIDIG_COMP_CNT: 0
	.type	__hip_cuid_b0723d5799e210dd,@object ; @__hip_cuid_b0723d5799e210dd
	.section	.bss,"aw",@nobits
	.globl	__hip_cuid_b0723d5799e210dd
__hip_cuid_b0723d5799e210dd:
	.byte	0                               ; 0x0
	.size	__hip_cuid_b0723d5799e210dd, 1

	.ident	"AMD clang version 19.0.0git (https://github.com/RadeonOpenCompute/llvm-project roc-6.4.0 25133 c7fe45cf4b819c5991fe208aaa96edf142730f1d)"
	.section	".note.GNU-stack","",@progbits
	.addrsig
	.addrsig_sym __hip_cuid_b0723d5799e210dd
	.amdgpu_metadata
---
amdhsa.kernels:
  - .args:
      - .actual_access:  read_only
        .address_space:  global
        .offset:         0
        .size:           8
        .value_kind:     global_buffer
      - .actual_access:  read_only
        .address_space:  global
        .offset:         8
        .size:           8
        .value_kind:     global_buffer
      - .actual_access:  read_only
        .address_space:  global
        .offset:         16
        .size:           8
        .value_kind:     global_buffer
      - .actual_access:  read_only
        .address_space:  global
        .offset:         24
        .size:           8
        .value_kind:     global_buffer
      - .actual_access:  read_only
        .address_space:  global
        .offset:         32
        .size:           8
        .value_kind:     global_buffer
      - .offset:         40
        .size:           8
        .value_kind:     by_value
      - .address_space:  global
        .offset:         48
        .size:           8
        .value_kind:     global_buffer
      - .address_space:  global
        .offset:         56
        .size:           8
        .value_kind:     global_buffer
      - .address_space:  global
        .offset:         64
        .size:           8
        .value_kind:     global_buffer
      - .address_space:  global
        .offset:         72
        .size:           8
        .value_kind:     global_buffer
      - .offset:         80
        .size:           4
        .value_kind:     by_value
      - .address_space:  global
        .offset:         88
        .size:           8
        .value_kind:     global_buffer
      - .address_space:  global
        .offset:         96
        .size:           8
        .value_kind:     global_buffer
    .group_segment_fixed_size: 23328
    .kernarg_segment_align: 8
    .kernarg_segment_size: 104
    .language:       OpenCL C
    .language_version:
      - 2
      - 0
    .max_flat_workgroup_size: 243
    .name:           bluestein_single_back_len2916_dim1_sp_op_CI_CI
    .private_segment_fixed_size: 0
    .sgpr_count:     24
    .sgpr_spill_count: 0
    .symbol:         bluestein_single_back_len2916_dim1_sp_op_CI_CI.kd
    .uniform_work_group_size: 1
    .uses_dynamic_stack: false
    .vgpr_count:     172
    .vgpr_spill_count: 0
    .wavefront_size: 64
amdhsa.target:   amdgcn-amd-amdhsa--gfx906
amdhsa.version:
  - 1
  - 2
...

	.end_amdgpu_metadata
